;; amdgpu-corpus repo=ROCm/rocFFT kind=compiled arch=gfx1100 opt=O3
	.text
	.amdgcn_target "amdgcn-amd-amdhsa--gfx1100"
	.amdhsa_code_object_version 6
	.protected	bluestein_single_fwd_len4096_dim1_dp_op_CI_CI ; -- Begin function bluestein_single_fwd_len4096_dim1_dp_op_CI_CI
	.globl	bluestein_single_fwd_len4096_dim1_dp_op_CI_CI
	.p2align	8
	.type	bluestein_single_fwd_len4096_dim1_dp_op_CI_CI,@function
bluestein_single_fwd_len4096_dim1_dp_op_CI_CI: ; @bluestein_single_fwd_len4096_dim1_dp_op_CI_CI
; %bb.0:
	s_mov_b32 s2, s15
	s_load_b128 s[12:15], s[0:1], 0x28
	v_mov_b32_e32 v255, v0
	s_mov_b32 s3, 0
	s_mov_b32 s5, exec_lo
	s_waitcnt lgkmcnt(0)
	v_cmpx_lt_u64_e64 s[2:3], s[12:13]
	s_cbranch_execz .LBB0_2
; %bb.1:
	s_clause 0x1
	s_load_b128 s[4:7], s[0:1], 0x18
	s_load_b128 s[8:11], s[0:1], 0x0
	v_dual_mov_b32 v186, s3 :: v_dual_mov_b32 v185, s2
	v_lshlrev_b32_e32 v186, 4, v255
	s_mov_b32 s12, 0xa6aea964
	s_mov_b32 s13, 0xbfd87de2
	s_load_b64 s[0:1], s[0:1], 0x38
	v_lshlrev_b32_e32 v195, 8, v255
	v_or_b32_e32 v254, 0x1000, v186
	s_waitcnt lgkmcnt(0)
	s_load_b128 s[16:19], s[4:5], 0x0
	s_add_u32 s20, s8, 0x10000
	s_addc_u32 s21, s9, 0
	s_waitcnt lgkmcnt(0)
	v_mad_u64_u32 v[1:2], null, s18, v185, 0
	v_mad_u64_u32 v[3:4], null, s16, v255, 0
	s_lshl_b64 s[2:3], s[16:17], 12
	s_mov_b32 s16, s12
	s_delay_alu instid0(VALU_DEP_1) | instskip(SKIP_1) | instid1(VALU_DEP_1)
	v_mad_u64_u32 v[5:6], null, s19, v185, v[2:3]
	s_mov_b32 s19, 0x3fed906b
	v_mad_u64_u32 v[6:7], null, s17, v255, v[4:5]
	v_mov_b32_e32 v2, v5
	s_mov_b32 s17, 0x3fd87de2
	s_delay_alu instid0(VALU_DEP_1) | instskip(NEXT) | instid1(VALU_DEP_3)
	v_lshlrev_b64 v[1:2], 4, v[1:2]
	v_mov_b32_e32 v4, v6
	s_delay_alu instid0(VALU_DEP_2) | instskip(NEXT) | instid1(VALU_DEP_2)
	v_add_co_u32 v0, vcc_lo, s14, v1
	v_lshlrev_b64 v[3:4], 4, v[3:4]
	s_delay_alu instid0(VALU_DEP_4) | instskip(SKIP_3) | instid1(VALU_DEP_2)
	v_add_co_ci_u32_e32 v2, vcc_lo, s15, v2, vcc_lo
	s_mov_b32 s14, 0xcf328d46
	s_mov_b32 s15, 0xbfed906b
	;; [unrolled: 1-line block ×3, first 2 shown]
	v_add_co_u32 v1, vcc_lo, v0, v3
	v_add_co_ci_u32_e32 v2, vcc_lo, v2, v4, vcc_lo
	s_delay_alu instid0(VALU_DEP_2) | instskip(NEXT) | instid1(VALU_DEP_2)
	v_add_co_u32 v3, vcc_lo, v1, s2
	v_add_co_ci_u32_e32 v4, vcc_lo, s3, v2, vcc_lo
	global_load_b128 v[17:20], v186, s[8:9]
	global_load_b128 v[9:12], v[1:2], off
	global_load_b128 v[21:24], v254, s[8:9]
	global_load_b128 v[13:16], v[3:4], off
	v_add_co_u32 v3, vcc_lo, v3, s2
	v_add_co_ci_u32_e32 v4, vcc_lo, s3, v4, vcc_lo
	s_waitcnt vmcnt(3)
	v_mov_b32_e32 v28, v20
	s_waitcnt vmcnt(2)
	v_mul_f64 v[1:2], v[11:12], v[19:20]
	v_mul_f64 v[5:6], v[9:10], v[19:20]
	v_dual_mov_b32 v27, v19 :: v_dual_mov_b32 v26, v18
	v_mov_b32_e32 v25, v17
	s_waitcnt vmcnt(0)
	v_mul_f64 v[7:8], v[15:16], v[23:24]
	v_mul_f64 v[17:18], v[13:14], v[23:24]
	v_or_b32_e32 v196, 0x2000, v186
	v_or_b32_e32 v199, 0x3000, v186
	;; [unrolled: 1-line block ×12, first 2 shown]
	v_fma_f64 v[65:66], v[9:10], v[25:26], v[1:2]
	v_fma_f64 v[67:68], v[11:12], v[25:26], -v[5:6]
	global_load_b128 v[9:12], v196, s[8:9]
	scratch_store_b128 off, v[21:24], off   ; 16-byte Folded Spill
	v_fma_f64 v[69:70], v[13:14], v[21:22], v[7:8]
	v_fma_f64 v[71:72], v[15:16], v[21:22], -v[17:18]
	global_load_b128 v[13:16], v[3:4], off
	s_waitcnt vmcnt(1)
	scratch_store_b128 off, v[9:12], off offset:16 ; 16-byte Folded Spill
	s_waitcnt vmcnt(0)
	v_mul_f64 v[1:2], v[15:16], v[11:12]
	v_mul_f64 v[5:6], v[13:14], v[11:12]
	s_delay_alu instid0(VALU_DEP_2) | instskip(SKIP_2) | instid1(VALU_DEP_4)
	v_fma_f64 v[73:74], v[13:14], v[9:10], v[1:2]
	v_add_co_u32 v1, vcc_lo, v3, s2
	v_add_co_ci_u32_e32 v2, vcc_lo, s3, v4, vcc_lo
	v_fma_f64 v[75:76], v[15:16], v[9:10], -v[5:6]
	global_load_b128 v[7:10], v199, s[8:9]
	scratch_store_b128 off, v[25:28], off offset:176 ; 16-byte Folded Spill
	global_load_b128 v[17:20], v[1:2], off
	v_add_co_u32 v1, vcc_lo, v1, s2
	v_add_co_ci_u32_e32 v2, vcc_lo, s3, v2, vcc_lo
	global_load_b128 v[21:24], v[1:2], off
	v_add_co_u32 v1, vcc_lo, v1, s2
	v_add_co_ci_u32_e32 v2, vcc_lo, s3, v2, vcc_lo
	;; [unrolled: 3-line block ×9, first 2 shown]
	s_waitcnt vmcnt(9)
	scratch_store_b128 off, v[7:10], off offset:32 ; 16-byte Folded Spill
	s_waitcnt vmcnt(8)
	v_mul_f64 v[3:4], v[19:20], v[9:10]
	v_mul_f64 v[5:6], v[17:18], v[9:10]
	s_delay_alu instid0(VALU_DEP_2) | instskip(NEXT) | instid1(VALU_DEP_2)
	v_fma_f64 v[77:78], v[17:18], v[7:8], v[3:4]
	v_fma_f64 v[79:80], v[19:20], v[7:8], -v[5:6]
	global_load_b128 v[7:10], v200, s[8:9]
	s_waitcnt vmcnt(0)
	v_mul_f64 v[3:4], v[23:24], v[9:10]
	v_mul_f64 v[5:6], v[21:22], v[9:10]
	scratch_store_b128 off, v[7:10], off offset:48 ; 16-byte Folded Spill
	v_fma_f64 v[81:82], v[21:22], v[7:8], v[3:4]
	v_fma_f64 v[83:84], v[23:24], v[7:8], -v[5:6]
	global_load_b128 v[7:10], v201, s[8:9]
	s_waitcnt vmcnt(0)
	v_mul_f64 v[3:4], v[27:28], v[9:10]
	v_mul_f64 v[5:6], v[25:26], v[9:10]
	scratch_store_b128 off, v[7:10], off offset:64 ; 16-byte Folded Spill
	;; [unrolled: 7-line block ×8, first 2 shown]
	v_fma_f64 v[109:110], v[49:50], v[7:8], v[3:4]
	v_fma_f64 v[111:112], v[51:52], v[7:8], -v[5:6]
	global_load_b128 v[49:52], v191, s[8:9]
	global_load_b128 v[53:56], v[1:2], off
	v_add_co_u32 v1, vcc_lo, v1, s2
	v_add_co_ci_u32_e32 v2, vcc_lo, s3, v2, vcc_lo
	s_waitcnt vmcnt(0)
	v_mul_f64 v[3:4], v[55:56], v[51:52]
	v_mul_f64 v[5:6], v[53:54], v[51:52]
	s_delay_alu instid0(VALU_DEP_2) | instskip(NEXT) | instid1(VALU_DEP_2)
	v_fma_f64 v[113:114], v[53:54], v[49:50], v[3:4]
	v_fma_f64 v[115:116], v[55:56], v[49:50], -v[5:6]
	global_load_b128 v[53:56], v0, s[8:9]
	global_load_b128 v[57:60], v[1:2], off
	v_add_co_u32 v1, vcc_lo, v1, s2
	v_or_b32_e32 v0, 0xe000, v186
	v_add_co_ci_u32_e32 v2, vcc_lo, s3, v2, vcc_lo
	s_waitcnt vmcnt(0)
	v_mul_f64 v[3:4], v[59:60], v[55:56]
	v_mul_f64 v[5:6], v[57:58], v[55:56]
	s_delay_alu instid0(VALU_DEP_2) | instskip(NEXT) | instid1(VALU_DEP_2)
	v_fma_f64 v[117:118], v[57:58], v[53:54], v[3:4]
	v_fma_f64 v[119:120], v[59:60], v[53:54], -v[5:6]
	global_load_b128 v[57:60], v0, s[8:9]
	global_load_b128 v[61:64], v[1:2], off
	v_add_co_u32 v1, vcc_lo, v1, s2
	v_add_co_ci_u32_e32 v2, vcc_lo, s3, v2, vcc_lo
	v_or_b32_e32 v0, 0xf000, v186
	s_mov_b32 s2, 0x667f3bcd
	s_mov_b32 s3, 0xbfe6a09e
	s_waitcnt vmcnt(0)
	v_mul_f64 v[3:4], v[63:64], v[59:60]
	v_mul_f64 v[5:6], v[61:62], v[59:60]
	s_delay_alu instid0(VALU_DEP_2) | instskip(NEXT) | instid1(VALU_DEP_2)
	v_fma_f64 v[121:122], v[61:62], v[57:58], v[3:4]
	v_fma_f64 v[123:124], v[63:64], v[57:58], -v[5:6]
	global_load_b128 v[125:128], v[1:2], off
	global_load_b128 v[61:64], v0, s[8:9]
	s_mov_b32 s9, 0x3fe6a09e
	s_mov_b32 s8, s2
	v_and_b32_e32 v0, 15, v255
	s_waitcnt vmcnt(0)
	v_mul_f64 v[1:2], v[127:128], v[63:64]
	v_mul_f64 v[3:4], v[125:126], v[63:64]
	s_delay_alu instid0(VALU_DEP_2) | instskip(NEXT) | instid1(VALU_DEP_2)
	v_fma_f64 v[125:126], v[125:126], v[61:62], v[1:2]
	v_fma_f64 v[127:128], v[127:128], v[61:62], -v[3:4]
	ds_store_b128 v186, v[65:68]
	ds_store_b128 v186, v[69:72] offset:4096
	ds_store_b128 v186, v[73:76] offset:8192
	;; [unrolled: 1-line block ×15, first 2 shown]
	s_load_b128 s[4:7], s[6:7], 0x0
	s_waitcnt lgkmcnt(0)
	s_waitcnt_vscnt null, 0x0
	s_barrier
	buffer_gl0_inv
	ds_load_b128 v[65:68], v186 offset:32768
	ds_load_b128 v[81:84], v186
	ds_load_b128 v[85:88], v186 offset:16384
	ds_load_b128 v[69:72], v186 offset:49152
	s_waitcnt lgkmcnt(2)
	v_add_f64 v[67:68], v[83:84], -v[67:68]
	s_waitcnt lgkmcnt(0)
	v_add_f64 v[1:2], v[85:86], -v[69:70]
	v_add_f64 v[3:4], v[87:88], -v[71:72]
	ds_load_b128 v[89:92], v186 offset:8192
	ds_load_b128 v[69:72], v186 offset:40960
	;; [unrolled: 1-line block ×4, first 2 shown]
	v_add_f64 v[65:66], v[81:82], -v[65:66]
	s_waitcnt lgkmcnt(2)
	v_add_f64 v[69:70], v[89:90], -v[69:70]
	s_waitcnt lgkmcnt(0)
	v_add_f64 v[7:8], v[95:96], -v[75:76]
	ds_load_b128 v[97:100], v186 offset:4096
	ds_load_b128 v[75:78], v186 offset:36864
	v_add_f64 v[5:6], v[93:94], -v[73:74]
	v_add_f64 v[71:72], v[91:92], -v[71:72]
	v_fma_f64 v[83:84], v[83:84], 2.0, -v[67:68]
	v_fma_f64 v[17:18], v[85:86], 2.0, -v[1:2]
	;; [unrolled: 1-line block ×3, first 2 shown]
	v_add_f64 v[1:2], v[67:68], v[1:2]
	v_fma_f64 v[81:82], v[81:82], 2.0, -v[65:66]
	v_add_f64 v[3:4], v[65:66], -v[3:4]
	s_waitcnt lgkmcnt(0)
	v_add_f64 v[73:74], v[99:100], -v[77:78]
	ds_load_b128 v[101:104], v186 offset:20480
	ds_load_b128 v[77:80], v186 offset:53248
	;; [unrolled: 1-line block ×4, first 2 shown]
	v_add_f64 v[75:76], v[97:98], -v[75:76]
	v_fma_f64 v[85:86], v[89:90], 2.0, -v[69:70]
	v_fma_f64 v[87:88], v[91:92], 2.0, -v[71:72]
	s_waitcnt lgkmcnt(2)
	v_add_f64 v[9:10], v[101:102], -v[77:78]
	v_add_f64 v[11:12], v[103:104], -v[79:80]
	s_waitcnt lgkmcnt(0)
	v_add_f64 v[79:80], v[105:106], -v[109:110]
	v_add_f64 v[77:78], v[107:108], -v[111:112]
	ds_load_b128 v[109:112], v186 offset:28672
	ds_load_b128 v[113:116], v186 offset:61440
	s_waitcnt lgkmcnt(0)
	s_barrier
	buffer_gl0_inv
	v_fma_f64 v[91:92], v[99:100], 2.0, -v[73:74]
	v_add_f64 v[99:100], v[83:84], -v[19:20]
	v_fma_f64 v[89:90], v[97:98], 2.0, -v[75:76]
	v_add_f64 v[97:98], v[81:82], -v[17:18]
	v_add_f64 v[15:16], v[109:110], -v[113:114]
	;; [unrolled: 1-line block ×3, first 2 shown]
	v_fma_f64 v[113:114], v[93:94], 2.0, -v[5:6]
	v_fma_f64 v[115:116], v[95:96], 2.0, -v[7:8]
	v_add_f64 v[7:8], v[69:70], -v[7:8]
	v_add_f64 v[5:6], v[71:72], v[5:6]
	v_fma_f64 v[117:118], v[101:102], 2.0, -v[9:10]
	v_fma_f64 v[119:120], v[103:104], 2.0, -v[11:12]
	;; [unrolled: 1-line block ×4, first 2 shown]
	v_add_f64 v[11:12], v[75:76], -v[11:12]
	v_add_f64 v[9:10], v[73:74], v[9:10]
	v_fma_f64 v[109:110], v[109:110], 2.0, -v[15:16]
	v_fma_f64 v[111:112], v[111:112], 2.0, -v[13:14]
	v_add_f64 v[101:102], v[85:86], -v[113:114]
	v_add_f64 v[103:104], v[87:88], -v[115:116]
	;; [unrolled: 1-line block ×3, first 2 shown]
	v_add_f64 v[15:16], v[77:78], v[15:16]
	v_add_f64 v[105:106], v[89:90], -v[117:118]
	v_add_f64 v[107:108], v[91:92], -v[119:120]
	;; [unrolled: 1-line block ×4, first 2 shown]
	v_add_f64 v[19:20], v[99:100], v[101:102]
	v_add_f64 v[17:18], v[97:98], -v[103:104]
	v_fma_f64 v[89:90], v[89:90], 2.0, -v[105:106]
	v_fma_f64 v[91:92], v[91:92], 2.0, -v[107:108]
	v_add_f64 v[119:120], v[107:108], v[109:110]
	v_add_f64 v[117:118], v[105:106], -v[111:112]
	v_fma_f64 v[135:136], v[99:100], 2.0, -v[19:20]
	v_fma_f64 v[133:134], v[97:98], 2.0, -v[17:18]
	s_delay_alu instid0(VALU_DEP_4) | instskip(NEXT) | instid1(VALU_DEP_4)
	v_fma_f64 v[115:116], v[119:120], s[8:9], v[19:20]
	v_fma_f64 v[113:114], v[117:118], s[8:9], v[17:18]
	v_fma_f64 v[121:122], v[105:106], 2.0, -v[117:118]
	s_delay_alu instid0(VALU_DEP_3) | instskip(SKIP_1) | instid1(VALU_DEP_4)
	v_fma_f64 v[115:116], v[117:118], s[8:9], v[115:116]
	v_fma_f64 v[117:118], v[107:108], 2.0, -v[119:120]
	v_fma_f64 v[113:114], v[119:120], s[2:3], v[113:114]
	s_delay_alu instid0(VALU_DEP_4) | instskip(NEXT) | instid1(VALU_DEP_3)
	v_fma_f64 v[119:120], v[121:122], s[2:3], v[133:134]
	v_fma_f64 v[123:124], v[117:118], s[2:3], v[135:136]
	s_delay_alu instid0(VALU_DEP_2) | instskip(NEXT) | instid1(VALU_DEP_2)
	v_fma_f64 v[117:118], v[117:118], s[2:3], v[119:120]
	v_fma_f64 v[119:120], v[121:122], s[8:9], v[123:124]
	;; [unrolled: 1-line block ×3, first 2 shown]
	s_delay_alu instid0(VALU_DEP_1) | instskip(SKIP_2) | instid1(VALU_DEP_3)
	v_fma_f64 v[137:138], v[5:6], s[2:3], v[121:122]
	v_fma_f64 v[121:122], v[5:6], s[8:9], v[1:2]
	v_fma_f64 v[5:6], v[71:72], 2.0, -v[5:6]
	v_fma_f64 v[141:142], v[3:4], 2.0, -v[137:138]
	s_delay_alu instid0(VALU_DEP_3) | instskip(SKIP_3) | instid1(VALU_DEP_4)
	v_fma_f64 v[139:140], v[7:8], s[8:9], v[121:122]
	v_fma_f64 v[121:122], v[13:14], s[8:9], v[11:12]
	v_fma_f64 v[3:4], v[65:66], 2.0, -v[3:4]
	v_fma_f64 v[7:8], v[69:70], 2.0, -v[7:8]
	;; [unrolled: 1-line block ×3, first 2 shown]
	s_delay_alu instid0(VALU_DEP_4) | instskip(SKIP_3) | instid1(VALU_DEP_4)
	v_fma_f64 v[125:126], v[15:16], s[2:3], v[121:122]
	v_fma_f64 v[121:122], v[15:16], s[8:9], v[9:10]
	v_fma_f64 v[15:16], v[77:78], 2.0, -v[15:16]
	v_fma_f64 v[1:2], v[67:68], 2.0, -v[1:2]
	;; [unrolled: 1-line block ×3, first 2 shown]
	s_delay_alu instid0(VALU_DEP_4)
	v_fma_f64 v[127:128], v[13:14], s[8:9], v[121:122]
	v_fma_f64 v[11:12], v[75:76], 2.0, -v[11:12]
	v_fma_f64 v[13:14], v[79:80], 2.0, -v[13:14]
	v_fma_f64 v[121:122], v[125:126], s[18:19], v[137:138]
	v_fma_f64 v[75:76], v[135:136], 2.0, -v[119:120]
	v_fma_f64 v[123:124], v[127:128], s[18:19], v[139:140]
	s_delay_alu instid0(VALU_DEP_4) | instskip(NEXT) | instid1(VALU_DEP_4)
	v_fma_f64 v[65:66], v[13:14], s[2:3], v[11:12]
	v_fma_f64 v[121:122], v[127:128], s[12:13], v[121:122]
	s_delay_alu instid0(VALU_DEP_3)
	v_fma_f64 v[123:124], v[125:126], s[16:17], v[123:124]
	v_fma_f64 v[125:126], v[9:10], 2.0, -v[127:128]
	v_fma_f64 v[9:10], v[73:74], 2.0, -v[9:10]
	v_fma_f64 v[65:66], v[15:16], s[2:3], v[65:66]
	v_fma_f64 v[127:128], v[129:130], s[12:13], v[141:142]
	v_fma_f64 v[73:74], v[133:134], 2.0, -v[117:118]
	ds_store_b128 v195, v[121:124] offset:240
	v_fma_f64 v[131:132], v[125:126], s[12:13], v[143:144]
	v_fma_f64 v[15:16], v[15:16], s[2:3], v[9:10]
	;; [unrolled: 1-line block ×3, first 2 shown]
	s_delay_alu instid0(VALU_DEP_3) | instskip(NEXT) | instid1(VALU_DEP_3)
	v_fma_f64 v[127:128], v[129:130], s[18:19], v[131:132]
	v_fma_f64 v[13:14], v[13:14], s[8:9], v[15:16]
	;; [unrolled: 1-line block ×3, first 2 shown]
	v_fma_f64 v[129:130], v[17:18], 2.0, -v[113:114]
	v_fma_f64 v[131:132], v[19:20], 2.0, -v[115:116]
	;; [unrolled: 1-line block ×11, first 2 shown]
	v_fma_f64 v[15:16], v[7:8], s[8:9], v[15:16]
	v_fma_f64 v[7:8], v[7:8], s[2:3], v[3:4]
	v_add_f64 v[93:94], v[17:18], -v[81:82]
	v_add_f64 v[95:96], v[19:20], -v[83:84]
	v_add_f64 v[97:98], v[91:92], -v[85:86]
	v_add_f64 v[99:100], v[89:90], -v[87:88]
	v_fma_f64 v[1:2], v[1:2], 2.0, -v[15:16]
	v_fma_f64 v[5:6], v[5:6], s[2:3], v[7:8]
	v_fma_f64 v[7:8], v[11:12], 2.0, -v[65:66]
	v_fma_f64 v[11:12], v[13:14], s[16:17], v[15:16]
	v_add_f64 v[81:82], v[93:94], -v[97:98]
	v_add_f64 v[83:84], v[95:96], v[99:100]
	ds_store_b128 v195, v[113:116] offset:224
	v_fma_f64 v[113:114], v[137:138], 2.0, -v[121:122]
	v_fma_f64 v[115:116], v[139:140], 2.0, -v[123:124]
	v_fma_f64 v[69:70], v[65:66], s[16:17], v[5:6]
	v_fma_f64 v[3:4], v[3:4], 2.0, -v[5:6]
	v_fma_f64 v[67:68], v[65:66], s[18:19], v[11:12]
	v_fma_f64 v[85:86], v[93:94], 2.0, -v[81:82]
	ds_store_b128 v195, v[81:84] offset:192
	v_fma_f64 v[87:88], v[95:96], 2.0, -v[83:84]
	ds_store_b128 v195, v[129:132] offset:96
	ds_store_b128 v195, v[113:116] offset:112
	;; [unrolled: 1-line block ×4, first 2 shown]
	v_fma_f64 v[65:66], v[13:14], s[14:15], v[69:70]
	v_fma_f64 v[11:12], v[7:8], s[14:15], v[3:4]
	;; [unrolled: 1-line block ×3, first 2 shown]
	v_fma_f64 v[83:84], v[15:16], 2.0, -v[67:68]
	ds_store_b128 v195, v[65:68] offset:208
	ds_store_b128 v195, v[85:88] offset:64
	v_fma_f64 v[69:70], v[9:10], s[12:13], v[11:12]
	v_fma_f64 v[71:72], v[7:8], s[16:17], v[13:14]
	v_fma_f64 v[81:82], v[5:6], 2.0, -v[65:66]
	v_fma_f64 v[5:6], v[17:18], 2.0, -v[93:94]
	;; [unrolled: 1-line block ×5, first 2 shown]
	s_delay_alu instid0(VALU_DEP_2) | instskip(NEXT) | instid1(VALU_DEP_2)
	v_add_f64 v[65:66], v[5:6], -v[9:10]
	v_add_f64 v[67:68], v[7:8], -v[11:12]
	ds_store_b128 v195, v[65:68] offset:128
	ds_store_b128 v195, v[73:76] offset:32
	ds_store_b128 v195, v[77:80] offset:48
	ds_store_b128 v195, v[81:84] offset:80
	v_fma_f64 v[85:86], v[5:6], 2.0, -v[65:66]
	v_fma_f64 v[87:88], v[7:8], 2.0, -v[67:68]
	;; [unrolled: 1-line block ×4, first 2 shown]
	v_mad_u64_u32 v[1:2], null, 0xf0, v0, s[10:11]
	ds_store_b128 v195, v[69:72] offset:144
	ds_store_b128 v195, v[85:88]
	ds_store_b128 v195, v[65:68] offset:16
	s_waitcnt lgkmcnt(0)
	s_barrier
	buffer_gl0_inv
	s_clause 0x5
	global_load_b128 v[65:68], v[1:2], off
	global_load_b128 v[85:88], v[1:2], off offset:16
	global_load_b128 v[117:120], v[1:2], off offset:32
	;; [unrolled: 1-line block ×5, first 2 shown]
	ds_load_b128 v[69:72], v186 offset:4096
	global_load_b128 v[105:108], v[1:2], off offset:96
	v_or_b32_e32 v0, v186, v255
	ds_load_b128 v[129:132], v186
	v_and_b32_e32 v0, 0xf0f, v0
	s_delay_alu instid0(VALU_DEP_1) | instskip(SKIP_3) | instid1(VALU_DEP_2)
	v_lshlrev_b32_e32 v192, 4, v0
	s_waitcnt vmcnt(6) lgkmcnt(1)
	v_mul_f64 v[3:4], v[71:72], v[67:68]
	v_mul_f64 v[5:6], v[69:70], v[67:68]
	v_fma_f64 v[3:4], v[69:70], v[65:66], -v[3:4]
	s_delay_alu instid0(VALU_DEP_2) | instskip(SKIP_4) | instid1(VALU_DEP_2)
	v_fma_f64 v[5:6], v[71:72], v[65:66], v[5:6]
	ds_load_b128 v[69:72], v186 offset:8192
	s_waitcnt vmcnt(5) lgkmcnt(0)
	v_mul_f64 v[7:8], v[71:72], v[87:88]
	v_mul_f64 v[9:10], v[69:70], v[87:88]
	v_fma_f64 v[7:8], v[69:70], v[85:86], -v[7:8]
	s_delay_alu instid0(VALU_DEP_2) | instskip(SKIP_4) | instid1(VALU_DEP_2)
	v_fma_f64 v[9:10], v[71:72], v[85:86], v[9:10]
	ds_load_b128 v[69:72], v186 offset:12288
	;; [unrolled: 7-line block ×3, first 2 shown]
	s_waitcnt vmcnt(3) lgkmcnt(0)
	v_mul_f64 v[15:16], v[71:72], v[123:124]
	v_mul_f64 v[17:18], v[69:70], v[123:124]
	v_fma_f64 v[15:16], v[69:70], v[121:122], -v[15:16]
	s_delay_alu instid0(VALU_DEP_2) | instskip(SKIP_3) | instid1(VALU_DEP_1)
	v_fma_f64 v[17:18], v[71:72], v[121:122], v[17:18]
	ds_load_b128 v[69:72], v186 offset:20480
	s_waitcnt vmcnt(2) lgkmcnt(0)
	v_mul_f64 v[19:20], v[71:72], v[127:128]
	v_fma_f64 v[19:20], v[69:70], v[125:126], -v[19:20]
	v_mul_f64 v[69:70], v[69:70], v[127:128]
	s_delay_alu instid0(VALU_DEP_1) | instskip(SKIP_3) | instid1(VALU_DEP_1)
	v_fma_f64 v[153:154], v[71:72], v[125:126], v[69:70]
	ds_load_b128 v[69:72], v186 offset:24576
	s_waitcnt vmcnt(1) lgkmcnt(0)
	v_mul_f64 v[73:74], v[71:72], v[115:116]
	v_fma_f64 v[149:150], v[69:70], v[113:114], -v[73:74]
	v_mul_f64 v[69:70], v[69:70], v[115:116]
	s_delay_alu instid0(VALU_DEP_1) | instskip(SKIP_3) | instid1(VALU_DEP_1)
	v_fma_f64 v[151:152], v[71:72], v[113:114], v[69:70]
	ds_load_b128 v[69:72], v186 offset:28672
	s_waitcnt vmcnt(0) lgkmcnt(0)
	v_mul_f64 v[73:74], v[71:72], v[107:108]
	v_fma_f64 v[157:158], v[69:70], v[105:106], -v[73:74]
	global_load_b128 v[73:76], v[1:2], off offset:112
	v_mul_f64 v[69:70], v[69:70], v[107:108]
	s_delay_alu instid0(VALU_DEP_1) | instskip(SKIP_3) | instid1(VALU_DEP_1)
	v_fma_f64 v[159:160], v[71:72], v[105:106], v[69:70]
	ds_load_b128 v[69:72], v186 offset:32768
	s_waitcnt vmcnt(0) lgkmcnt(0)
	v_mul_f64 v[77:78], v[71:72], v[75:76]
	v_fma_f64 v[133:134], v[69:70], v[73:74], -v[77:78]
	global_load_b128 v[77:80], v[1:2], off offset:176
	;; [unrolled: 8-line block ×3, first 2 shown]
	v_mul_f64 v[69:70], v[69:70], v[79:80]
	v_add_f64 v[177:178], v[15:16], -v[137:138]
	s_delay_alu instid0(VALU_DEP_2) | instskip(SKIP_3) | instid1(VALU_DEP_1)
	v_fma_f64 v[139:140], v[71:72], v[77:78], v[69:70]
	ds_load_b128 v[69:72], v186 offset:40960
	v_fma_f64 v[15:16], v[15:16], 2.0, -v[177:178]
	v_add_f64 v[179:180], v[17:18], -v[139:140]
	v_fma_f64 v[17:18], v[17:18], 2.0, -v[179:180]
	s_waitcnt vmcnt(0) lgkmcnt(0)
	v_mul_f64 v[89:90], v[71:72], v[83:84]
	s_delay_alu instid0(VALU_DEP_1) | instskip(SKIP_2) | instid1(VALU_DEP_1)
	v_fma_f64 v[145:146], v[69:70], v[81:82], -v[89:90]
	global_load_b128 v[89:92], v[1:2], off offset:208
	v_mul_f64 v[69:70], v[69:70], v[83:84]
	v_fma_f64 v[147:148], v[71:72], v[81:82], v[69:70]
	ds_load_b128 v[69:72], v186 offset:57344
	s_waitcnt vmcnt(0) lgkmcnt(0)
	v_mul_f64 v[93:94], v[71:72], v[91:92]
	s_delay_alu instid0(VALU_DEP_1) | instskip(SKIP_3) | instid1(VALU_DEP_2)
	v_fma_f64 v[155:156], v[69:70], v[89:90], -v[93:94]
	global_load_b128 v[93:96], v[1:2], off offset:128
	v_mul_f64 v[69:70], v[69:70], v[91:92]
	v_add_f64 v[181:182], v[149:150], -v[155:156]
	v_fma_f64 v[161:162], v[71:72], v[89:90], v[69:70]
	ds_load_b128 v[69:72], v186 offset:36864
	v_add_f64 v[183:184], v[151:152], -v[161:162]
	s_waitcnt vmcnt(0) lgkmcnt(0)
	v_mul_f64 v[97:98], v[71:72], v[95:96]
	s_delay_alu instid0(VALU_DEP_1) | instskip(SKIP_3) | instid1(VALU_DEP_2)
	v_fma_f64 v[163:164], v[69:70], v[93:94], -v[97:98]
	global_load_b128 v[97:100], v[1:2], off offset:192
	v_mul_f64 v[69:70], v[69:70], v[95:96]
	v_add_f64 v[137:138], v[3:4], -v[163:164]
	v_fma_f64 v[165:166], v[71:72], v[93:94], v[69:70]
	ds_load_b128 v[69:72], v186 offset:53248
	s_waitcnt vmcnt(0) lgkmcnt(0)
	v_mul_f64 v[101:102], v[71:72], v[99:100]
	s_delay_alu instid0(VALU_DEP_1) | instskip(SKIP_2) | instid1(VALU_DEP_1)
	v_fma_f64 v[167:168], v[69:70], v[97:98], -v[101:102]
	global_load_b128 v[101:104], v[1:2], off offset:160
	v_mul_f64 v[69:70], v[69:70], v[99:100]
	v_fma_f64 v[169:170], v[71:72], v[97:98], v[69:70]
	ds_load_b128 v[69:72], v186 offset:45056
	s_waitcnt vmcnt(0) lgkmcnt(0)
	v_mul_f64 v[109:110], v[71:72], v[103:104]
	s_delay_alu instid0(VALU_DEP_1) | instskip(SKIP_3) | instid1(VALU_DEP_2)
	v_fma_f64 v[171:172], v[69:70], v[101:102], -v[109:110]
	global_load_b128 v[109:112], v[1:2], off offset:224
	v_mul_f64 v[69:70], v[69:70], v[103:104]
	v_add_f64 v[139:140], v[11:12], -v[171:172]
	v_fma_f64 v[173:174], v[71:72], v[101:102], v[69:70]
	ds_load_b128 v[69:72], v186 offset:61440
	s_waitcnt vmcnt(0) lgkmcnt(0)
	s_barrier
	buffer_gl0_inv
	v_mul_f64 v[1:2], v[69:70], v[111:112]
	s_delay_alu instid0(VALU_DEP_1) | instskip(SKIP_1) | instid1(VALU_DEP_2)
	v_fma_f64 v[1:2], v[71:72], v[109:110], v[1:2]
	v_mul_f64 v[71:72], v[71:72], v[111:112]
	v_add_f64 v[1:2], v[159:160], -v[1:2]
	s_delay_alu instid0(VALU_DEP_2)
	v_fma_f64 v[175:176], v[69:70], v[109:110], -v[71:72]
	v_add_f64 v[69:70], v[129:130], -v[133:134]
	v_add_f64 v[71:72], v[131:132], -v[135:136]
	;; [unrolled: 1-line block ×7, first 2 shown]
	v_fma_f64 v[141:142], v[129:130], 2.0, -v[69:70]
	v_fma_f64 v[143:144], v[131:132], 2.0, -v[71:72]
	v_add_f64 v[129:130], v[7:8], -v[145:146]
	v_add_f64 v[131:132], v[9:10], -v[147:148]
	;; [unrolled: 1-line block ×3, first 2 shown]
	v_fma_f64 v[155:156], v[13:14], 2.0, -v[135:136]
	v_add_f64 v[177:178], v[71:72], v[177:178]
	v_add_f64 v[208:209], v[133:134], v[165:166]
	v_add_f64 v[206:207], v[137:138], -v[167:168]
	v_fma_f64 v[13:14], v[157:158], 2.0, -v[169:170]
	v_add_f64 v[15:16], v[141:142], -v[15:16]
	v_add_f64 v[17:18], v[143:144], -v[17:18]
	v_fma_f64 v[145:146], v[7:8], 2.0, -v[129:130]
	v_fma_f64 v[147:148], v[9:10], 2.0, -v[131:132]
	;; [unrolled: 1-line block ×10, first 2 shown]
	v_add_f64 v[183:184], v[129:130], -v[183:184]
	v_add_f64 v[181:182], v[131:132], v[181:182]
	v_add_f64 v[1:2], v[139:140], -v[1:2]
	v_add_f64 v[210:211], v[135:136], v[169:170]
	v_add_f64 v[7:8], v[145:146], -v[7:8]
	v_add_f64 v[9:10], v[147:148], -v[9:10]
	;; [unrolled: 1-line block ×6, first 2 shown]
	v_fma_f64 v[165:166], v[183:184], s[8:9], v[179:180]
	v_add_f64 v[175:176], v[17:18], v[7:8]
	v_add_f64 v[19:20], v[15:16], -v[9:10]
	v_fma_f64 v[7:8], v[145:146], 2.0, -v[7:8]
	v_fma_f64 v[9:10], v[147:148], 2.0, -v[9:10]
	v_add_f64 v[163:164], v[5:6], v[13:14]
	v_fma_f64 v[13:14], v[153:154], 2.0, -v[13:14]
	v_add_f64 v[161:162], v[3:4], -v[11:12]
	v_fma_f64 v[212:213], v[181:182], s[2:3], v[165:166]
	v_fma_f64 v[165:166], v[181:182], s[8:9], v[177:178]
	v_fma_f64 v[11:12], v[155:156], 2.0, -v[11:12]
	v_fma_f64 v[204:205], v[17:18], 2.0, -v[175:176]
	;; [unrolled: 1-line block ×5, first 2 shown]
	v_fma_f64 v[159:160], v[163:164], s[8:9], v[175:176]
	v_fma_f64 v[157:158], v[161:162], s[8:9], v[19:20]
	v_fma_f64 v[171:172], v[3:4], 2.0, -v[161:162]
	v_fma_f64 v[214:215], v[183:184], s[8:9], v[165:166]
	v_fma_f64 v[165:166], v[1:2], s[8:9], v[206:207]
	v_fma_f64 v[216:217], v[179:180], 2.0, -v[212:213]
	v_fma_f64 v[3:4], v[149:150], 2.0, -v[3:4]
	v_add_f64 v[7:8], v[15:16], -v[7:8]
	v_add_f64 v[9:10], v[17:18], -v[9:10]
	v_fma_f64 v[159:160], v[161:162], s[8:9], v[159:160]
	v_fma_f64 v[161:162], v[5:6], 2.0, -v[163:164]
	v_fma_f64 v[5:6], v[151:152], 2.0, -v[5:6]
	v_fma_f64 v[157:158], v[163:164], s[2:3], v[157:158]
	v_fma_f64 v[163:164], v[171:172], s[2:3], v[187:188]
	v_fma_f64 v[218:219], v[177:178], 2.0, -v[214:215]
	v_fma_f64 v[169:170], v[210:211], s[2:3], v[165:166]
	v_fma_f64 v[165:166], v[210:211], s[8:9], v[208:209]
	v_add_f64 v[13:14], v[3:4], -v[13:14]
	v_fma_f64 v[175:176], v[175:176], 2.0, -v[159:160]
	v_fma_f64 v[173:174], v[161:162], s[2:3], v[204:205]
	v_add_f64 v[11:12], v[5:6], -v[11:12]
	v_fma_f64 v[161:162], v[161:162], s[2:3], v[163:164]
	v_add_f64 v[143:144], v[9:10], v[13:14]
	v_fma_f64 v[3:4], v[3:4], 2.0, -v[13:14]
	v_fma_f64 v[163:164], v[171:172], s[8:9], v[173:174]
	v_fma_f64 v[171:172], v[1:2], s[8:9], v[165:166]
	v_fma_f64 v[165:166], v[169:170], s[18:19], v[212:213]
	v_fma_f64 v[173:174], v[206:207], 2.0, -v[169:170]
	v_fma_f64 v[1:2], v[139:140], 2.0, -v[1:2]
	;; [unrolled: 1-line block ×5, first 2 shown]
	v_add_f64 v[141:142], v[7:8], -v[11:12]
	ds_store_b128 v192, v[157:160] offset:3584
	v_fma_f64 v[147:148], v[9:10], 2.0, -v[143:144]
	v_fma_f64 v[5:6], v[5:6], 2.0, -v[11:12]
	;; [unrolled: 1-line block ×3, first 2 shown]
	v_fma_f64 v[167:168], v[171:172], s[18:19], v[214:215]
	v_fma_f64 v[165:166], v[171:172], s[12:13], v[165:166]
	ds_store_b128 v192, v[141:144] offset:3072
	v_fma_f64 v[145:146], v[7:8], 2.0, -v[141:142]
	v_fma_f64 v[167:168], v[169:170], s[16:17], v[167:168]
	v_fma_f64 v[169:170], v[208:209], 2.0, -v[171:172]
	v_fma_f64 v[171:172], v[173:174], s[12:13], v[216:217]
	s_delay_alu instid0(VALU_DEP_3) | instskip(NEXT) | instid1(VALU_DEP_3)
	v_fma_f64 v[159:160], v[214:215], 2.0, -v[167:168]
	v_fma_f64 v[220:221], v[169:170], s[12:13], v[218:219]
	s_delay_alu instid0(VALU_DEP_3)
	v_fma_f64 v[169:170], v[169:170], s[14:15], v[171:172]
	ds_store_b128 v192, v[165:168] offset:3840
	v_fma_f64 v[171:172], v[173:174], s[18:19], v[220:221]
	v_fma_f64 v[173:174], v[19:20], 2.0, -v[157:158]
	v_fma_f64 v[19:20], v[137:138], 2.0, -v[206:207]
	;; [unrolled: 1-line block ×6, first 2 shown]
	ds_store_b128 v192, v[173:176] offset:1536
	ds_store_b128 v192, v[157:160] offset:1792
	v_fma_f64 v[133:134], v[1:2], s[2:3], v[19:20]
	ds_store_b128 v192, v[161:164] offset:2560
	ds_store_b128 v192, v[169:172] offset:2816
	v_fma_f64 v[133:134], v[131:132], s[2:3], v[133:134]
	v_fma_f64 v[131:132], v[131:132], s[2:3], v[129:130]
	s_delay_alu instid0(VALU_DEP_2) | instskip(NEXT) | instid1(VALU_DEP_2)
	v_fma_f64 v[19:20], v[19:20], 2.0, -v[133:134]
	v_fma_f64 v[1:2], v[1:2], s[8:9], v[131:132]
	v_fma_f64 v[131:132], v[71:72], s[2:3], v[139:140]
	s_delay_alu instid0(VALU_DEP_1) | instskip(SKIP_1) | instid1(VALU_DEP_2)
	v_fma_f64 v[143:144], v[69:70], s[8:9], v[131:132]
	v_fma_f64 v[69:70], v[69:70], s[2:3], v[137:138]
	v_fma_f64 v[151:152], v[139:140], 2.0, -v[143:144]
	s_delay_alu instid0(VALU_DEP_2) | instskip(SKIP_2) | instid1(VALU_DEP_3)
	v_fma_f64 v[141:142], v[71:72], s[2:3], v[69:70]
	v_fma_f64 v[69:70], v[1:2], s[16:17], v[143:144]
	v_fma_f64 v[139:140], v[218:219], 2.0, -v[171:172]
	v_fma_f64 v[131:132], v[133:134], s[16:17], v[141:142]
	v_fma_f64 v[149:150], v[137:138], 2.0, -v[141:142]
	s_delay_alu instid0(VALU_DEP_4)
	v_fma_f64 v[71:72], v[133:134], s[18:19], v[69:70]
	v_fma_f64 v[133:134], v[187:188], 2.0, -v[161:162]
	v_fma_f64 v[137:138], v[216:217], 2.0, -v[169:170]
	v_fma_f64 v[69:70], v[1:2], s[14:15], v[131:132]
	v_fma_f64 v[1:2], v[129:130], 2.0, -v[1:2]
	v_fma_f64 v[129:130], v[19:20], s[14:15], v[149:150]
	v_fma_f64 v[143:144], v[143:144], 2.0, -v[71:72]
	ds_store_b128 v192, v[69:72] offset:3328
	ds_store_b128 v192, v[145:148] offset:1024
	v_fma_f64 v[131:132], v[1:2], s[14:15], v[151:152]
	v_fma_f64 v[129:130], v[1:2], s[12:13], v[129:130]
	v_fma_f64 v[1:2], v[15:16], 2.0, -v[7:8]
	v_fma_f64 v[7:8], v[17:18], 2.0, -v[9:10]
	v_fma_f64 v[141:142], v[141:142], 2.0, -v[69:70]
	v_fma_f64 v[131:132], v[19:20], s[16:17], v[131:132]
	s_delay_alu instid0(VALU_DEP_4) | instskip(NEXT) | instid1(VALU_DEP_4)
	v_add_f64 v[69:70], v[1:2], -v[3:4]
	v_add_f64 v[71:72], v[7:8], -v[5:6]
	ds_store_b128 v192, v[69:72] offset:2048
	ds_store_b128 v192, v[133:136] offset:512
	;; [unrolled: 1-line block ×4, first 2 shown]
	v_fma_f64 v[145:146], v[1:2], 2.0, -v[69:70]
	v_fma_f64 v[147:148], v[7:8], 2.0, -v[71:72]
	;; [unrolled: 1-line block ×4, first 2 shown]
	v_mad_u64_u32 v[1:2], null, 0xf0, v255, s[10:11]
	ds_store_b128 v192, v[129:132] offset:2304
	ds_store_b128 v192, v[145:148]
	ds_store_b128 v192, v[69:72] offset:256
	s_waitcnt lgkmcnt(0)
	s_barrier
	buffer_gl0_inv
	s_clause 0x1
	global_load_b128 v[69:72], v[1:2], off offset:3840
	global_load_b128 v[161:164], v[1:2], off offset:3952
	ds_load_b128 v[129:132], v186 offset:4096
	ds_load_b128 v[133:136], v186 offset:8192
	;; [unrolled: 1-line block ×6, first 2 shown]
	s_waitcnt vmcnt(1) lgkmcnt(5)
	v_mul_f64 v[3:4], v[131:132], v[71:72]
	v_mul_f64 v[5:6], v[129:130], v[71:72]
	s_delay_alu instid0(VALU_DEP_2) | instskip(NEXT) | instid1(VALU_DEP_2)
	v_fma_f64 v[23:24], v[129:130], v[69:70], -v[3:4]
	v_fma_f64 v[27:28], v[131:132], v[69:70], v[5:6]
	global_load_b128 v[129:132], v[1:2], off offset:3856
	s_waitcnt vmcnt(0) lgkmcnt(4)
	v_mul_f64 v[7:8], v[135:136], v[131:132]
	v_mul_f64 v[9:10], v[133:134], v[131:132]
	s_delay_alu instid0(VALU_DEP_2) | instskip(NEXT) | instid1(VALU_DEP_2)
	v_fma_f64 v[7:8], v[133:134], v[129:130], -v[7:8]
	v_fma_f64 v[9:10], v[135:136], v[129:130], v[9:10]
	global_load_b128 v[133:136], v[1:2], off offset:3872
	;; [unrolled: 7-line block ×4, first 2 shown]
	s_waitcnt vmcnt(0) lgkmcnt(1)
	v_mul_f64 v[19:20], v[147:148], v[143:144]
	s_delay_alu instid0(VALU_DEP_1) | instskip(SKIP_1) | instid1(VALU_DEP_1)
	v_fma_f64 v[19:20], v[145:146], v[141:142], -v[19:20]
	v_mul_f64 v[145:146], v[145:146], v[143:144]
	v_fma_f64 v[187:188], v[147:148], v[141:142], v[145:146]
	global_load_b128 v[145:148], v[1:2], off offset:3920
	s_waitcnt vmcnt(0) lgkmcnt(0)
	v_mul_f64 v[153:154], v[151:152], v[147:148]
	s_delay_alu instid0(VALU_DEP_1)
	v_fma_f64 v[208:209], v[149:150], v[145:146], -v[153:154]
	v_mul_f64 v[149:150], v[149:150], v[147:148]
	ds_load_b128 v[153:156], v186 offset:28672
	v_fma_f64 v[210:211], v[151:152], v[145:146], v[149:150]
	global_load_b128 v[149:152], v[1:2], off offset:3936
	s_waitcnt vmcnt(0) lgkmcnt(0)
	v_mul_f64 v[157:158], v[155:156], v[151:152]
	s_delay_alu instid0(VALU_DEP_1) | instskip(SKIP_1) | instid1(VALU_DEP_1)
	v_fma_f64 v[212:213], v[153:154], v[149:150], -v[157:158]
	v_mul_f64 v[153:154], v[153:154], v[151:152]
	v_fma_f64 v[214:215], v[155:156], v[149:150], v[153:154]
	ds_load_b128 v[153:156], v186 offset:32768
	s_waitcnt lgkmcnt(0)
	v_mul_f64 v[157:158], v[155:156], v[163:164]
	s_delay_alu instid0(VALU_DEP_1)
	v_fma_f64 v[216:217], v[153:154], v[161:162], -v[157:158]
	v_mul_f64 v[153:154], v[153:154], v[163:164]
	ds_load_b128 v[157:160], v186 offset:36864
	v_fma_f64 v[218:219], v[155:156], v[161:162], v[153:154]
	global_load_b128 v[153:156], v[1:2], off offset:3968
	s_waitcnt vmcnt(0) lgkmcnt(0)
	v_mul_f64 v[165:166], v[159:160], v[155:156]
	s_delay_alu instid0(VALU_DEP_1) | instskip(SKIP_2) | instid1(VALU_DEP_1)
	v_fma_f64 v[220:221], v[157:158], v[153:154], -v[165:166]
	global_load_b128 v[165:168], v[1:2], off offset:3984
	v_mul_f64 v[157:158], v[157:158], v[155:156]
	v_fma_f64 v[222:223], v[159:160], v[153:154], v[157:158]
	ds_load_b128 v[157:160], v186 offset:40960
	s_waitcnt vmcnt(0) lgkmcnt(0)
	v_mul_f64 v[169:170], v[159:160], v[167:168]
	s_delay_alu instid0(VALU_DEP_1)
	v_fma_f64 v[224:225], v[157:158], v[165:166], -v[169:170]
	v_mul_f64 v[157:158], v[157:158], v[167:168]
	ds_load_b128 v[169:172], v186 offset:45056
	v_fma_f64 v[226:227], v[159:160], v[165:166], v[157:158]
	global_load_b128 v[157:160], v[1:2], off offset:4000
	s_waitcnt vmcnt(0) lgkmcnt(0)
	v_mul_f64 v[173:174], v[171:172], v[159:160]
	s_delay_alu instid0(VALU_DEP_1) | instskip(SKIP_3) | instid1(VALU_DEP_2)
	v_fma_f64 v[228:229], v[169:170], v[157:158], -v[173:174]
	global_load_b128 v[173:176], v[1:2], off offset:4016
	v_mul_f64 v[169:170], v[169:170], v[159:160]
	v_add_f64 v[228:229], v[11:12], -v[228:229]
	v_fma_f64 v[230:231], v[171:172], v[157:158], v[169:170]
	ds_load_b128 v[169:172], v186 offset:49152
	v_fma_f64 v[33:34], v[11:12], 2.0, -v[228:229]
	v_add_f64 v[230:231], v[13:14], -v[230:231]
	s_delay_alu instid0(VALU_DEP_1) | instskip(SKIP_2) | instid1(VALU_DEP_1)
	v_fma_f64 v[25:26], v[13:14], 2.0, -v[230:231]
	s_waitcnt vmcnt(0) lgkmcnt(0)
	v_mul_f64 v[177:178], v[171:172], v[175:176]
	v_fma_f64 v[232:233], v[169:170], v[173:174], -v[177:178]
	v_mul_f64 v[169:170], v[169:170], v[175:176]
	ds_load_b128 v[177:180], v186 offset:53248
	v_fma_f64 v[234:235], v[171:172], v[173:174], v[169:170]
	global_load_b128 v[169:172], v[1:2], off offset:4032
	s_waitcnt vmcnt(0) lgkmcnt(0)
	v_mul_f64 v[181:182], v[179:180], v[171:172]
	s_delay_alu instid0(VALU_DEP_1) | instskip(SKIP_2) | instid1(VALU_DEP_1)
	v_fma_f64 v[236:237], v[177:178], v[169:170], -v[181:182]
	global_load_b128 v[181:184], v[1:2], off offset:4048
	v_mul_f64 v[177:178], v[177:178], v[171:172]
	v_fma_f64 v[238:239], v[179:180], v[169:170], v[177:178]
	ds_load_b128 v[177:180], v186 offset:57344
	s_waitcnt vmcnt(0) lgkmcnt(0)
	v_mul_f64 v[204:205], v[179:180], v[183:184]
	s_delay_alu instid0(VALU_DEP_1)
	v_fma_f64 v[240:241], v[177:178], v[181:182], -v[204:205]
	v_mul_f64 v[177:178], v[177:178], v[183:184]
	ds_load_b128 v[204:207], v186 offset:61440
	v_fma_f64 v[242:243], v[179:180], v[181:182], v[177:178]
	global_load_b128 v[177:180], v[1:2], off offset:4064
	s_waitcnt vmcnt(0) lgkmcnt(0)
	v_mul_f64 v[1:2], v[206:207], v[179:180]
	s_delay_alu instid0(VALU_DEP_1) | instskip(SKIP_1) | instid1(VALU_DEP_2)
	v_fma_f64 v[1:2], v[204:205], v[177:178], -v[1:2]
	v_mul_f64 v[204:205], v[204:205], v[179:180]
	v_add_f64 v[21:22], v[212:213], -v[1:2]
	s_delay_alu instid0(VALU_DEP_2)
	v_fma_f64 v[244:245], v[206:207], v[177:178], v[204:205]
	ds_load_b128 v[204:207], v186
	s_waitcnt lgkmcnt(0)
	v_add_f64 v[246:247], v[204:205], -v[216:217]
	v_add_f64 v[248:249], v[206:207], -v[218:219]
	v_add_f64 v[216:217], v[15:16], -v[232:233]
	v_add_f64 v[218:219], v[17:18], -v[234:235]
	v_add_f64 v[232:233], v[7:8], -v[224:225]
	v_add_f64 v[234:235], v[9:10], -v[226:227]
	v_add_f64 v[224:225], v[208:209], -v[240:241]
	v_add_f64 v[226:227], v[210:211], -v[242:243]
	v_add_f64 v[240:241], v[23:24], -v[220:221]
	v_add_f64 v[242:243], v[27:28], -v[222:223]
	v_add_f64 v[220:221], v[19:20], -v[236:237]
	v_add_f64 v[222:223], v[187:188], -v[238:239]
	v_add_f64 v[236:237], v[214:215], -v[244:245]
	v_fma_f64 v[250:251], v[204:205], 2.0, -v[246:247]
	v_fma_f64 v[252:253], v[206:207], 2.0, -v[248:249]
	v_fma_f64 v[15:16], v[15:16], 2.0, -v[216:217]
	v_fma_f64 v[17:18], v[17:18], 2.0, -v[218:219]
	v_fma_f64 v[45:46], v[7:8], 2.0, -v[232:233]
	v_fma_f64 v[41:42], v[9:10], 2.0, -v[234:235]
	v_fma_f64 v[204:205], v[208:209], 2.0, -v[224:225]
	v_fma_f64 v[206:207], v[210:211], 2.0, -v[226:227]
	v_fma_f64 v[29:30], v[23:24], 2.0, -v[240:241]
	v_fma_f64 v[37:38], v[27:28], 2.0, -v[242:243]
	v_fma_f64 v[19:20], v[19:20], 2.0, -v[220:221]
	v_fma_f64 v[187:188], v[187:188], 2.0, -v[222:223]
	v_fma_f64 v[210:211], v[212:213], 2.0, -v[21:22]
	v_add_f64 v[6:7], v[232:233], -v[226:227]
	v_add_f64 v[35:36], v[248:249], v[216:217]
	v_add_f64 v[4:5], v[234:235], v[224:225]
	v_add_f64 v[39:40], v[240:241], -v[222:223]
	v_fma_f64 v[208:209], v[214:215], 2.0, -v[236:237]
	v_add_f64 v[43:44], v[228:229], -v[236:237]
	v_add_f64 v[2:3], v[242:243], v[220:221]
	v_add_f64 v[21:22], v[230:231], v[21:22]
	v_add_f64 v[15:16], v[250:251], -v[15:16]
	v_add_f64 v[17:18], v[252:253], -v[17:18]
	;; [unrolled: 1-line block ×8, first 2 shown]
	v_add_f64 v[0:1], v[17:18], v[238:239]
	v_add_f64 v[23:24], v[15:16], -v[244:245]
	s_delay_alu instid0(VALU_DEP_4)
	v_add_f64 v[208:209], v[187:188], v[12:13]
	v_fma_f64 v[12:13], v[33:34], 2.0, -v[12:13]
	v_fma_f64 v[33:34], v[240:241], 2.0, -v[39:40]
	v_add_f64 v[27:28], v[19:20], -v[189:190]
	v_fma_f64 v[25:26], v[25:26], 2.0, -v[189:190]
	v_fma_f64 v[31:32], v[17:18], 2.0, -v[0:1]
	;; [unrolled: 1-line block ×3, first 2 shown]
	v_fma_f64 v[206:207], v[208:209], s[8:9], v[0:1]
	v_fma_f64 v[204:205], v[27:28], s[8:9], v[23:24]
	s_delay_alu instid0(VALU_DEP_2) | instskip(SKIP_1) | instid1(VALU_DEP_3)
	v_fma_f64 v[206:207], v[27:28], s[8:9], v[206:207]
	v_fma_f64 v[27:28], v[19:20], 2.0, -v[27:28]
	v_fma_f64 v[204:205], v[208:209], s[2:3], v[204:205]
	v_fma_f64 v[208:209], v[187:188], 2.0, -v[208:209]
	s_delay_alu instid0(VALU_DEP_4) | instskip(NEXT) | instid1(VALU_DEP_4)
	v_fma_f64 v[222:223], v[0:1], 2.0, -v[206:207]
	v_fma_f64 v[210:211], v[27:28], s[2:3], v[10:11]
	v_fma_f64 v[0:1], v[250:251], 2.0, -v[15:16]
	v_fma_f64 v[14:15], v[252:253], 2.0, -v[17:18]
	;; [unrolled: 1-line block ×4, first 2 shown]
	v_fma_f64 v[212:213], v[208:209], s[2:3], v[31:32]
	v_fma_f64 v[37:38], v[228:229], 2.0, -v[43:44]
	v_fma_f64 v[16:17], v[45:46], 2.0, -v[238:239]
	v_fma_f64 v[208:209], v[208:209], s[2:3], v[210:211]
	v_add_f64 v[12:13], v[18:19], -v[12:13]
	v_add_f64 v[25:26], v[29:30], -v[25:26]
	v_fma_f64 v[210:211], v[27:28], s[8:9], v[212:213]
	v_add_f64 v[27:28], v[246:247], -v[218:219]
	v_add_f64 v[16:17], v[0:1], -v[16:17]
	s_delay_alu instid0(VALU_DEP_2) | instskip(NEXT) | instid1(VALU_DEP_2)
	v_fma_f64 v[212:213], v[6:7], s[8:9], v[27:28]
	v_fma_f64 v[0:1], v[0:1], 2.0, -v[16:17]
	s_delay_alu instid0(VALU_DEP_2) | instskip(SKIP_2) | instid1(VALU_DEP_3)
	v_fma_f64 v[224:225], v[4:5], s[2:3], v[212:213]
	v_fma_f64 v[212:213], v[4:5], s[8:9], v[35:36]
	v_fma_f64 v[4:5], v[234:235], 2.0, -v[4:5]
	v_fma_f64 v[236:237], v[27:28], 2.0, -v[224:225]
	s_delay_alu instid0(VALU_DEP_3) | instskip(SKIP_3) | instid1(VALU_DEP_4)
	v_fma_f64 v[226:227], v[6:7], s[8:9], v[212:213]
	v_fma_f64 v[212:213], v[43:44], s[8:9], v[39:40]
	v_fma_f64 v[27:28], v[246:247], 2.0, -v[27:28]
	v_fma_f64 v[6:7], v[232:233], 2.0, -v[6:7]
	;; [unrolled: 1-line block ×3, first 2 shown]
	s_delay_alu instid0(VALU_DEP_4) | instskip(SKIP_3) | instid1(VALU_DEP_4)
	v_fma_f64 v[216:217], v[21:22], s[2:3], v[212:213]
	v_fma_f64 v[212:213], v[21:22], s[8:9], v[2:3]
	v_fma_f64 v[20:21], v[230:231], 2.0, -v[21:22]
	v_fma_f64 v[35:36], v[248:249], 2.0, -v[35:36]
	;; [unrolled: 1-line block ×3, first 2 shown]
	s_delay_alu instid0(VALU_DEP_4) | instskip(SKIP_2) | instid1(VALU_DEP_4)
	v_fma_f64 v[218:219], v[43:44], s[8:9], v[212:213]
	v_fma_f64 v[212:213], v[216:217], s[18:19], v[224:225]
	;; [unrolled: 1-line block ×4, first 2 shown]
	s_delay_alu instid0(VALU_DEP_4) | instskip(NEXT) | instid1(VALU_DEP_4)
	v_fma_f64 v[214:215], v[218:219], s[18:19], v[226:227]
	v_fma_f64 v[212:213], v[218:219], s[12:13], v[212:213]
	s_delay_alu instid0(VALU_DEP_4) | instskip(NEXT) | instid1(VALU_DEP_3)
	v_fma_f64 v[39:40], v[20:21], s[2:3], v[39:40]
	v_fma_f64 v[214:215], v[216:217], s[16:17], v[214:215]
	v_fma_f64 v[216:217], v[2:3], 2.0, -v[218:219]
	v_fma_f64 v[2:3], v[242:243], 2.0, -v[2:3]
	ds_store_b128 v186, v[204:207] offset:57344
	ds_store_b128 v186, v[212:215] offset:61440
	v_fma_f64 v[218:219], v[216:217], s[12:13], v[8:9]
	v_fma_f64 v[20:21], v[20:21], s[2:3], v[2:3]
	v_fma_f64 v[206:207], v[226:227], 2.0, -v[214:215]
	v_fma_f64 v[216:217], v[216:217], s[14:15], v[47:48]
	s_delay_alu instid0(VALU_DEP_4) | instskip(NEXT) | instid1(VALU_DEP_4)
	v_fma_f64 v[218:219], v[220:221], s[18:19], v[218:219]
	v_fma_f64 v[20:21], v[37:38], s[8:9], v[20:21]
	v_fma_f64 v[37:38], v[4:5], s[2:3], v[35:36]
	v_fma_f64 v[220:221], v[23:24], 2.0, -v[204:205]
	v_fma_f64 v[23:24], v[41:42], 2.0, -v[244:245]
	;; [unrolled: 1-line block ×3, first 2 shown]
	v_add_f64 v[212:213], v[16:17], -v[25:26]
	v_fma_f64 v[2:3], v[2:3], 2.0, -v[20:21]
	v_fma_f64 v[37:38], v[6:7], s[8:9], v[37:38]
	v_fma_f64 v[6:7], v[6:7], s[2:3], v[27:28]
	v_add_f64 v[23:24], v[14:15], -v[23:24]
	v_fma_f64 v[224:225], v[16:17], 2.0, -v[212:213]
	s_delay_alu instid0(VALU_DEP_3) | instskip(NEXT) | instid1(VALU_DEP_3)
	v_fma_f64 v[4:5], v[4:5], s[2:3], v[6:7]
	v_add_f64 v[214:215], v[23:24], v[12:13]
	v_fma_f64 v[6:7], v[33:34], 2.0, -v[39:40]
	v_fma_f64 v[33:34], v[20:21], s[16:17], v[37:38]
	s_delay_alu instid0(VALU_DEP_4)
	v_fma_f64 v[41:42], v[39:40], s[16:17], v[4:5]
	ds_store_b128 v186, v[212:215] offset:49152
	v_fma_f64 v[226:227], v[23:24], 2.0, -v[214:215]
	v_fma_f64 v[214:215], v[39:40], s[18:19], v[33:34]
	ds_store_b128 v186, v[220:223] offset:24576
	ds_store_b128 v186, v[204:207] offset:28672
	v_fma_f64 v[204:205], v[10:11], 2.0, -v[208:209]
	ds_store_b128 v186, v[208:211] offset:40960
	ds_store_b128 v186, v[216:219] offset:45056
	v_fma_f64 v[208:209], v[236:237], 2.0, -v[216:217]
	v_fma_f64 v[206:207], v[31:32], 2.0, -v[210:211]
	;; [unrolled: 1-line block ×3, first 2 shown]
	v_fma_f64 v[212:213], v[20:21], s[14:15], v[41:42]
	v_fma_f64 v[20:21], v[27:28], 2.0, -v[4:5]
	v_fma_f64 v[27:28], v[35:36], 2.0, -v[37:38]
	;; [unrolled: 1-line block ×3, first 2 shown]
	ds_store_b128 v186, v[212:215] offset:53248
	ds_store_b128 v186, v[224:227] offset:16384
	v_fma_f64 v[33:34], v[6:7], s[14:15], v[20:21]
	v_fma_f64 v[35:36], v[2:3], s[14:15], v[27:28]
	v_fma_f64 v[216:217], v[4:5], 2.0, -v[212:213]
	v_fma_f64 v[4:5], v[18:19], 2.0, -v[12:13]
	s_delay_alu instid0(VALU_DEP_4) | instskip(NEXT) | instid1(VALU_DEP_4)
	v_fma_f64 v[228:229], v[2:3], s[12:13], v[33:34]
	v_fma_f64 v[230:231], v[6:7], s[16:17], v[35:36]
	v_fma_f64 v[2:3], v[14:15], 2.0, -v[23:24]
	v_fma_f64 v[6:7], v[29:30], 2.0, -v[25:26]
	v_add_f64 v[212:213], v[0:1], -v[4:5]
	s_delay_alu instid0(VALU_DEP_2) | instskip(NEXT) | instid1(VALU_DEP_2)
	v_add_f64 v[214:215], v[2:3], -v[6:7]
	v_fma_f64 v[220:221], v[0:1], 2.0, -v[212:213]
	ds_store_b128 v186, v[212:215] offset:32768
	ds_store_b128 v186, v[204:207] offset:8192
	;; [unrolled: 1-line block ×4, first 2 shown]
	v_fma_f64 v[222:223], v[2:3], 2.0, -v[214:215]
	v_fma_f64 v[204:205], v[20:21], 2.0, -v[228:229]
	;; [unrolled: 1-line block ×3, first 2 shown]
	ds_store_b128 v186, v[228:231] offset:36864
	ds_store_b128 v186, v[220:223]
	ds_store_b128 v186, v[204:207] offset:4096
	s_waitcnt lgkmcnt(0)
	s_barrier
	buffer_gl0_inv
	global_load_b128 v[204:207], v186, s[20:21]
	ds_load_b128 v[208:211], v186
	ds_load_b128 v[214:217], v186 offset:4096
	ds_load_b128 v[220:223], v186 offset:8192
	;; [unrolled: 1-line block ×8, first 2 shown]
	s_waitcnt vmcnt(0) lgkmcnt(8)
	v_mul_f64 v[0:1], v[210:211], v[206:207]
	v_mul_f64 v[2:3], v[208:209], v[206:207]
	s_delay_alu instid0(VALU_DEP_2) | instskip(NEXT) | instid1(VALU_DEP_2)
	v_fma_f64 v[206:207], v[208:209], v[204:205], -v[0:1]
	v_fma_f64 v[208:209], v[210:211], v[204:205], v[2:3]
	global_load_b128 v[210:213], v254, s[20:21]
	s_waitcnt vmcnt(0) lgkmcnt(7)
	v_mul_f64 v[0:1], v[216:217], v[212:213]
	v_mul_f64 v[2:3], v[214:215], v[212:213]
	s_delay_alu instid0(VALU_DEP_2) | instskip(NEXT) | instid1(VALU_DEP_2)
	v_fma_f64 v[212:213], v[214:215], v[210:211], -v[0:1]
	v_fma_f64 v[214:215], v[216:217], v[210:211], v[2:3]
	global_load_b128 v[216:219], v196, s[20:21]
	;; [unrolled: 7-line block ×4, first 2 shown]
	s_waitcnt vmcnt(0) lgkmcnt(4)
	v_mul_f64 v[0:1], v[234:235], v[230:231]
	v_mul_f64 v[2:3], v[232:233], v[230:231]
	s_delay_alu instid0(VALU_DEP_2) | instskip(NEXT) | instid1(VALU_DEP_2)
	v_fma_f64 v[230:231], v[232:233], v[228:229], -v[0:1]
	v_fma_f64 v[232:233], v[234:235], v[228:229], v[2:3]
	s_clause 0x1
	global_load_b128 v[234:237], v201, s[20:21]
	global_load_b128 v[199:202], v202, s[20:21]
	s_waitcnt vmcnt(1) lgkmcnt(3)
	v_mul_f64 v[0:1], v[240:241], v[236:237]
	v_mul_f64 v[2:3], v[238:239], v[236:237]
	s_delay_alu instid0(VALU_DEP_2) | instskip(NEXT) | instid1(VALU_DEP_2)
	v_fma_f64 v[236:237], v[238:239], v[234:235], -v[0:1]
	v_fma_f64 v[238:239], v[240:241], v[234:235], v[2:3]
	ds_load_b128 v[240:243], v186 offset:24576
	s_waitcnt vmcnt(0) lgkmcnt(0)
	v_mul_f64 v[0:1], v[242:243], v[201:202]
	v_mul_f64 v[2:3], v[240:241], v[201:202]
	s_delay_alu instid0(VALU_DEP_2) | instskip(NEXT) | instid1(VALU_DEP_2)
	v_fma_f64 v[240:241], v[240:241], v[199:200], -v[0:1]
	v_fma_f64 v[242:243], v[242:243], v[199:200], v[2:3]
	global_load_b128 v[199:202], v203, s[20:21]
	s_waitcnt vmcnt(0)
	v_mul_f64 v[0:1], v[246:247], v[201:202]
	v_mul_f64 v[2:3], v[244:245], v[201:202]
	s_delay_alu instid0(VALU_DEP_2) | instskip(NEXT) | instid1(VALU_DEP_2)
	v_fma_f64 v[201:202], v[244:245], v[199:200], -v[0:1]
	v_fma_f64 v[203:204], v[246:247], v[199:200], v[2:3]
	s_clause 0x1
	global_load_b128 v[244:247], v197, s[20:21]
	global_load_b128 v[196:199], v198, s[20:21]
	s_waitcnt vmcnt(1)
	v_mul_f64 v[0:1], v[250:251], v[246:247]
	v_mul_f64 v[2:3], v[248:249], v[246:247]
	s_delay_alu instid0(VALU_DEP_2) | instskip(NEXT) | instid1(VALU_DEP_2)
	v_fma_f64 v[246:247], v[248:249], v[244:245], -v[0:1]
	v_fma_f64 v[248:249], v[250:251], v[244:245], v[2:3]
	ds_load_b128 v[250:253], v186 offset:36864
	s_waitcnt vmcnt(0) lgkmcnt(0)
	v_mul_f64 v[0:1], v[252:253], v[198:199]
	v_mul_f64 v[2:3], v[250:251], v[198:199]
	s_delay_alu instid0(VALU_DEP_2) | instskip(NEXT) | instid1(VALU_DEP_2)
	v_fma_f64 v[250:251], v[250:251], v[196:197], -v[0:1]
	v_fma_f64 v[252:253], v[252:253], v[196:197], v[2:3]
	global_load_b128 v[196:199], v193, s[20:21]
	s_waitcnt vmcnt(0)
	v_mul_f64 v[0:1], v[189:190], v[198:199]
	v_mul_f64 v[2:3], v[187:188], v[198:199]
	s_delay_alu instid0(VALU_DEP_2) | instskip(NEXT) | instid1(VALU_DEP_2)
	v_fma_f64 v[187:188], v[187:188], v[196:197], -v[0:1]
	v_fma_f64 v[189:190], v[189:190], v[196:197], v[2:3]
	global_load_b128 v[196:199], v194, s[20:21]
	ds_load_b128 v[0:3], v186 offset:45056
	s_waitcnt vmcnt(0) lgkmcnt(0)
	v_mul_f64 v[4:5], v[2:3], v[198:199]
	v_mul_f64 v[6:7], v[0:1], v[198:199]
	s_delay_alu instid0(VALU_DEP_2) | instskip(NEXT) | instid1(VALU_DEP_2)
	v_fma_f64 v[16:17], v[0:1], v[196:197], -v[4:5]
	v_fma_f64 v[18:19], v[2:3], v[196:197], v[6:7]
	global_load_b128 v[196:199], v191, s[20:21]
	ds_load_b128 v[0:3], v186 offset:49152
	s_waitcnt vmcnt(0) lgkmcnt(0)
	v_mul_f64 v[4:5], v[2:3], v[198:199]
	v_mul_f64 v[6:7], v[0:1], v[198:199]
	s_delay_alu instid0(VALU_DEP_2) | instskip(SKIP_1) | instid1(VALU_DEP_3)
	v_fma_f64 v[12:13], v[0:1], v[196:197], -v[4:5]
	v_or_b32_e32 v0, 0xd000, v186
	v_fma_f64 v[14:15], v[2:3], v[196:197], v[6:7]
	global_load_b128 v[196:199], v0, s[20:21]
	ds_load_b128 v[0:3], v186 offset:53248
	s_waitcnt vmcnt(0) lgkmcnt(0)
	v_mul_f64 v[4:5], v[2:3], v[198:199]
	v_mul_f64 v[6:7], v[0:1], v[198:199]
	s_delay_alu instid0(VALU_DEP_2) | instskip(SKIP_1) | instid1(VALU_DEP_3)
	v_fma_f64 v[8:9], v[0:1], v[196:197], -v[4:5]
	v_or_b32_e32 v0, 0xe000, v186
	;; [unrolled: 9-line block ×3, first 2 shown]
	v_fma_f64 v[6:7], v[2:3], v[196:197], v[6:7]
	global_load_b128 v[196:199], v0, s[20:21]
	ds_load_b128 v[0:3], v186 offset:61440
	s_waitcnt vmcnt(0) lgkmcnt(0)
	v_mul_f64 v[21:22], v[2:3], v[198:199]
	v_mul_f64 v[23:24], v[0:1], v[198:199]
	s_delay_alu instid0(VALU_DEP_2) | instskip(NEXT) | instid1(VALU_DEP_2)
	v_fma_f64 v[0:1], v[0:1], v[196:197], -v[21:22]
	v_fma_f64 v[2:3], v[2:3], v[196:197], v[23:24]
	ds_store_b128 v186, v[206:209]
	ds_store_b128 v186, v[212:215] offset:4096
	ds_store_b128 v186, v[218:221] offset:8192
	ds_store_b128 v186, v[224:227] offset:12288
	ds_store_b128 v186, v[230:233] offset:16384
	ds_store_b128 v186, v[236:239] offset:20480
	ds_store_b128 v186, v[240:243] offset:24576
	ds_store_b128 v186, v[201:204] offset:28672
	ds_store_b128 v186, v[246:249] offset:32768
	ds_store_b128 v186, v[250:253] offset:36864
	ds_store_b128 v186, v[187:190] offset:40960
	ds_store_b128 v186, v[16:19] offset:45056
	ds_store_b128 v186, v[12:15] offset:49152
	ds_store_b128 v186, v[8:11] offset:53248
	ds_store_b128 v186, v[4:7] offset:57344
	ds_store_b128 v186, v[0:3] offset:61440
	s_waitcnt lgkmcnt(0)
	s_barrier
	buffer_gl0_inv
	ds_load_b128 v[0:3], v186 offset:32768
	ds_load_b128 v[4:7], v186
	s_waitcnt lgkmcnt(0)
	v_add_f64 v[21:22], v[4:5], -v[0:1]
	v_add_f64 v[23:24], v[6:7], -v[2:3]
	ds_load_b128 v[0:3], v186 offset:16384
	ds_load_b128 v[8:11], v186 offset:49152
	s_waitcnt lgkmcnt(0)
	v_add_f64 v[25:26], v[0:1], -v[8:9]
	v_add_f64 v[27:28], v[2:3], -v[10:11]
	ds_load_b128 v[8:11], v186 offset:8192
	ds_load_b128 v[12:15], v186 offset:40960
	v_fma_f64 v[208:209], v[6:7], 2.0, -v[23:24]
	s_waitcnt lgkmcnt(0)
	v_add_f64 v[29:30], v[8:9], -v[12:13]
	v_add_f64 v[31:32], v[10:11], -v[14:15]
	ds_load_b128 v[12:15], v186 offset:24576
	ds_load_b128 v[16:19], v186 offset:57344
	v_fma_f64 v[0:1], v[0:1], 2.0, -v[25:26]
	v_fma_f64 v[2:3], v[2:3], 2.0, -v[27:28]
	v_add_f64 v[27:28], v[21:22], v[27:28]
	v_add_f64 v[25:26], v[23:24], -v[25:26]
	s_waitcnt lgkmcnt(0)
	v_add_f64 v[33:34], v[12:13], -v[16:17]
	v_add_f64 v[35:36], v[14:15], -v[18:19]
	ds_load_b128 v[16:19], v186 offset:4096
	ds_load_b128 v[187:190], v186 offset:36864
	v_fma_f64 v[210:211], v[8:9], 2.0, -v[29:30]
	v_fma_f64 v[212:213], v[10:11], 2.0, -v[31:32]
	s_waitcnt lgkmcnt(0)
	v_add_f64 v[37:38], v[16:17], -v[187:188]
	v_add_f64 v[39:40], v[18:19], -v[189:190]
	ds_load_b128 v[187:190], v186 offset:20480
	ds_load_b128 v[196:199], v186 offset:53248
	v_fma_f64 v[23:24], v[23:24], 2.0, -v[25:26]
	v_fma_f64 v[6:7], v[14:15], 2.0, -v[35:36]
	v_add_f64 v[35:36], v[29:30], v[35:36]
	s_waitcnt lgkmcnt(0)
	v_add_f64 v[41:42], v[187:188], -v[196:197]
	v_add_f64 v[43:44], v[189:190], -v[198:199]
	ds_load_b128 v[196:199], v186 offset:12288
	ds_load_b128 v[200:203], v186 offset:45056
	v_fma_f64 v[214:215], v[16:17], 2.0, -v[37:38]
	v_fma_f64 v[216:217], v[18:19], 2.0, -v[39:40]
	s_waitcnt lgkmcnt(0)
	v_add_f64 v[45:46], v[196:197], -v[200:201]
	v_add_f64 v[47:48], v[198:199], -v[202:203]
	ds_load_b128 v[200:203], v186 offset:28672
	ds_load_b128 v[204:207], v186 offset:61440
	s_waitcnt lgkmcnt(0)
	s_barrier
	buffer_gl0_inv
	v_fma_f64 v[8:9], v[187:188], 2.0, -v[41:42]
	v_fma_f64 v[10:11], v[189:190], 2.0, -v[43:44]
	v_add_f64 v[43:44], v[37:38], v[43:44]
	v_add_f64 v[41:42], v[39:40], -v[41:42]
	v_add_f64 v[204:205], v[200:201], -v[204:205]
	;; [unrolled: 1-line block ×3, first 2 shown]
	v_fma_f64 v[206:207], v[4:5], 2.0, -v[21:22]
	v_fma_f64 v[4:5], v[12:13], 2.0, -v[33:34]
	v_add_f64 v[33:34], v[31:32], -v[33:34]
	v_fma_f64 v[21:22], v[21:22], 2.0, -v[27:28]
	v_fma_f64 v[187:188], v[196:197], 2.0, -v[45:46]
	;; [unrolled: 1-line block ×3, first 2 shown]
	v_add_f64 v[198:199], v[208:209], -v[2:3]
	v_add_f64 v[218:219], v[214:215], -v[8:9]
	;; [unrolled: 1-line block ×3, first 2 shown]
	v_fma_f64 v[14:15], v[200:201], 2.0, -v[204:205]
	v_fma_f64 v[12:13], v[202:203], 2.0, -v[193:194]
	v_add_f64 v[196:197], v[206:207], -v[0:1]
	v_add_f64 v[200:201], v[210:211], -v[4:5]
	v_add_f64 v[202:203], v[212:213], -v[6:7]
	v_add_f64 v[193:194], v[45:46], v[193:194]
	v_add_f64 v[204:205], v[47:48], -v[204:205]
	v_fma_f64 v[208:209], v[208:209], 2.0, -v[198:199]
	v_add_f64 v[224:225], v[187:188], -v[14:15]
	v_add_f64 v[222:223], v[189:190], -v[12:13]
	v_fma_f64 v[206:207], v[206:207], 2.0, -v[196:197]
	v_add_f64 v[18:19], v[198:199], -v[200:201]
	v_add_f64 v[16:17], v[196:197], v[202:203]
	v_add_f64 v[6:7], v[220:221], -v[224:225]
	v_add_f64 v[4:5], v[218:219], v[222:223]
	v_fma_f64 v[189:190], v[189:190], 2.0, -v[222:223]
	v_fma_f64 v[228:229], v[198:199], 2.0, -v[18:19]
	;; [unrolled: 1-line block ×4, first 2 shown]
	v_fma_f64 v[2:3], v[6:7], s[8:9], v[18:19]
	v_fma_f64 v[0:1], v[4:5], s[8:9], v[16:17]
	v_fma_f64 v[8:9], v[218:219], 2.0, -v[4:5]
	s_delay_alu instid0(VALU_DEP_3) | instskip(SKIP_1) | instid1(VALU_DEP_4)
	v_fma_f64 v[2:3], v[4:5], s[2:3], v[2:3]
	v_fma_f64 v[4:5], v[220:221], 2.0, -v[6:7]
	v_fma_f64 v[0:1], v[6:7], s[8:9], v[0:1]
	s_delay_alu instid0(VALU_DEP_4) | instskip(NEXT) | instid1(VALU_DEP_4)
	v_fma_f64 v[6:7], v[8:9], s[2:3], v[226:227]
	v_fma_f64 v[18:19], v[18:19], 2.0, -v[2:3]
	s_delay_alu instid0(VALU_DEP_4) | instskip(NEXT) | instid1(VALU_DEP_4)
	v_fma_f64 v[10:11], v[4:5], s[2:3], v[228:229]
	v_fma_f64 v[16:17], v[16:17], 2.0, -v[0:1]
	s_delay_alu instid0(VALU_DEP_4) | instskip(NEXT) | instid1(VALU_DEP_3)
	v_fma_f64 v[4:5], v[4:5], s[8:9], v[6:7]
	v_fma_f64 v[6:7], v[8:9], s[2:3], v[10:11]
	;; [unrolled: 1-line block ×3, first 2 shown]
	s_delay_alu instid0(VALU_DEP_1) | instskip(SKIP_1) | instid1(VALU_DEP_2)
	v_fma_f64 v[230:231], v[33:34], s[8:9], v[8:9]
	v_fma_f64 v[8:9], v[33:34], s[8:9], v[25:26]
	v_fma_f64 v[236:237], v[27:28], 2.0, -v[230:231]
	s_delay_alu instid0(VALU_DEP_2) | instskip(SKIP_3) | instid1(VALU_DEP_4)
	v_fma_f64 v[232:233], v[35:36], s[2:3], v[8:9]
	v_fma_f64 v[8:9], v[193:194], s[8:9], v[43:44]
	v_fma_f64 v[27:28], v[31:32], 2.0, -v[33:34]
	v_fma_f64 v[31:32], v[47:48], 2.0, -v[204:205]
	;; [unrolled: 1-line block ×3, first 2 shown]
	s_delay_alu instid0(VALU_DEP_4) | instskip(SKIP_3) | instid1(VALU_DEP_4)
	v_fma_f64 v[12:13], v[204:205], s[8:9], v[8:9]
	v_fma_f64 v[8:9], v[204:205], s[8:9], v[41:42]
	v_fma_f64 v[25:26], v[29:30], 2.0, -v[35:36]
	v_fma_f64 v[29:30], v[39:40], 2.0, -v[41:42]
	;; [unrolled: 1-line block ×3, first 2 shown]
	s_delay_alu instid0(VALU_DEP_4) | instskip(SKIP_1) | instid1(VALU_DEP_2)
	v_fma_f64 v[14:15], v[193:194], s[2:3], v[8:9]
	v_fma_f64 v[8:9], v[12:13], s[18:19], v[230:231]
	;; [unrolled: 1-line block ×3, first 2 shown]
	s_delay_alu instid0(VALU_DEP_2) | instskip(NEXT) | instid1(VALU_DEP_2)
	v_fma_f64 v[8:9], v[14:15], s[16:17], v[8:9]
	v_fma_f64 v[10:11], v[12:13], s[12:13], v[10:11]
	ds_store_b128 v195, v[0:3] offset:224
	v_fma_f64 v[0:1], v[230:231], 2.0, -v[8:9]
	v_fma_f64 v[12:13], v[41:42], 2.0, -v[14:15]
	v_fma_f64 v[14:15], v[234:235], s[12:13], v[236:237]
	ds_store_b128 v195, v[8:11] offset:240
	v_fma_f64 v[2:3], v[232:233], 2.0, -v[10:11]
	v_fma_f64 v[8:9], v[210:211], 2.0, -v[200:201]
	;; [unrolled: 1-line block ×5, first 2 shown]
	v_fma_f64 v[240:241], v[12:13], s[12:13], v[238:239]
	v_fma_f64 v[12:13], v[12:13], s[18:19], v[14:15]
	v_add_f64 v[210:211], v[206:207], -v[8:9]
	v_add_f64 v[212:213], v[208:209], -v[10:11]
	;; [unrolled: 1-line block ×4, first 2 shown]
	v_fma_f64 v[14:15], v[234:235], s[14:15], v[240:241]
	s_delay_alu instid0(VALU_DEP_3) | instskip(NEXT) | instid1(VALU_DEP_3)
	v_add_f64 v[10:11], v[212:213], -v[216:217]
	v_add_f64 v[8:9], v[210:211], v[214:215]
	s_delay_alu instid0(VALU_DEP_2) | instskip(NEXT) | instid1(VALU_DEP_2)
	v_fma_f64 v[189:190], v[212:213], 2.0, -v[10:11]
	v_fma_f64 v[187:188], v[210:211], 2.0, -v[8:9]
	ds_store_b128 v195, v[8:11] offset:192
	v_fma_f64 v[8:9], v[37:38], 2.0, -v[43:44]
	v_fma_f64 v[10:11], v[45:46], 2.0, -v[193:194]
	ds_store_b128 v195, v[16:19] offset:96
	ds_store_b128 v195, v[0:3] offset:112
	v_fma_f64 v[0:1], v[226:227], 2.0, -v[4:5]
	v_fma_f64 v[2:3], v[228:229], 2.0, -v[6:7]
	ds_store_b128 v195, v[4:7] offset:160
	ds_store_b128 v195, v[12:15] offset:176
	v_fma_f64 v[4:5], v[236:237], 2.0, -v[12:13]
	v_fma_f64 v[6:7], v[238:239], 2.0, -v[14:15]
	;; [unrolled: 1-line block ×4, first 2 shown]
	v_fma_f64 v[33:34], v[10:11], s[2:3], v[8:9]
	s_delay_alu instid0(VALU_DEP_1) | instskip(SKIP_1) | instid1(VALU_DEP_1)
	v_fma_f64 v[33:34], v[31:32], s[8:9], v[33:34]
	v_fma_f64 v[31:32], v[31:32], s[2:3], v[29:30]
	v_fma_f64 v[31:32], v[10:11], s[2:3], v[31:32]
	v_fma_f64 v[10:11], v[27:28], s[2:3], v[23:24]
	s_delay_alu instid0(VALU_DEP_2) | instskip(NEXT) | instid1(VALU_DEP_2)
	v_fma_f64 v[29:30], v[29:30], 2.0, -v[31:32]
	v_fma_f64 v[35:36], v[25:26], s[2:3], v[10:11]
	v_fma_f64 v[10:11], v[25:26], s[2:3], v[21:22]
	s_delay_alu instid0(VALU_DEP_2) | instskip(NEXT) | instid1(VALU_DEP_2)
	v_fma_f64 v[23:24], v[23:24], 2.0, -v[35:36]
	v_fma_f64 v[25:26], v[27:28], s[8:9], v[10:11]
	v_fma_f64 v[27:28], v[8:9], 2.0, -v[33:34]
	v_fma_f64 v[8:9], v[31:32], s[16:17], v[35:36]
	s_delay_alu instid0(VALU_DEP_3) | instskip(SKIP_1) | instid1(VALU_DEP_3)
	v_fma_f64 v[37:38], v[33:34], s[16:17], v[25:26]
	v_fma_f64 v[21:22], v[21:22], 2.0, -v[25:26]
	v_fma_f64 v[10:11], v[33:34], s[14:15], v[8:9]
	v_fma_f64 v[33:34], v[29:30], s[14:15], v[23:24]
	s_delay_alu instid0(VALU_DEP_4)
	v_fma_f64 v[8:9], v[31:32], s[18:19], v[37:38]
	ds_store_b128 v195, v[8:11] offset:208
	ds_store_b128 v195, v[187:190] offset:64
	v_fma_f64 v[12:13], v[25:26], 2.0, -v[8:9]
	v_fma_f64 v[14:15], v[35:36], 2.0, -v[10:11]
	;; [unrolled: 1-line block ×4, first 2 shown]
	v_fma_f64 v[31:32], v[27:28], s[14:15], v[21:22]
	v_fma_f64 v[198:199], v[27:28], s[12:13], v[33:34]
	s_delay_alu instid0(VALU_DEP_4) | instskip(NEXT) | instid1(VALU_DEP_4)
	v_add_f64 v[8:9], v[16:17], -v[8:9]
	v_add_f64 v[10:11], v[18:19], -v[10:11]
	s_delay_alu instid0(VALU_DEP_4)
	v_fma_f64 v[196:197], v[29:30], s[16:17], v[31:32]
	ds_store_b128 v195, v[8:11] offset:128
	ds_store_b128 v195, v[0:3] offset:32
	;; [unrolled: 1-line block ×4, first 2 shown]
	v_fma_f64 v[16:17], v[16:17], 2.0, -v[8:9]
	v_fma_f64 v[18:19], v[18:19], 2.0, -v[10:11]
	;; [unrolled: 1-line block ×4, first 2 shown]
	ds_store_b128 v195, v[196:199] offset:144
	ds_store_b128 v195, v[16:19]
	ds_store_b128 v195, v[0:3] offset:16
	s_waitcnt lgkmcnt(0)
	s_barrier
	buffer_gl0_inv
	ds_load_b128 v[0:3], v186 offset:4096
	s_waitcnt lgkmcnt(0)
	v_mul_f64 v[4:5], v[67:68], v[2:3]
	s_delay_alu instid0(VALU_DEP_1) | instskip(SKIP_1) | instid1(VALU_DEP_1)
	v_fma_f64 v[4:5], v[65:66], v[0:1], v[4:5]
	v_mul_f64 v[0:1], v[67:68], v[0:1]
	v_fma_f64 v[6:7], v[65:66], v[2:3], -v[0:1]
	ds_load_b128 v[0:3], v186 offset:8192
	s_waitcnt lgkmcnt(0)
	v_mul_f64 v[8:9], v[87:88], v[2:3]
	s_delay_alu instid0(VALU_DEP_1) | instskip(SKIP_1) | instid1(VALU_DEP_1)
	v_fma_f64 v[8:9], v[85:86], v[0:1], v[8:9]
	v_mul_f64 v[0:1], v[87:88], v[0:1]
	v_fma_f64 v[10:11], v[85:86], v[2:3], -v[0:1]
	;; [unrolled: 7-line block ×8, first 2 shown]
	ds_load_b128 v[0:3], v186 offset:49152
	s_waitcnt lgkmcnt(0)
	v_mul_f64 v[37:38], v[79:80], v[2:3]
	s_delay_alu instid0(VALU_DEP_1) | instskip(SKIP_1) | instid1(VALU_DEP_2)
	v_fma_f64 v[37:38], v[77:78], v[0:1], v[37:38]
	v_mul_f64 v[0:1], v[79:80], v[0:1]
	v_add_f64 v[37:38], v[16:17], -v[37:38]
	s_delay_alu instid0(VALU_DEP_2) | instskip(SKIP_4) | instid1(VALU_DEP_2)
	v_fma_f64 v[39:40], v[77:78], v[2:3], -v[0:1]
	ds_load_b128 v[0:3], v186 offset:40960
	s_waitcnt lgkmcnt(0)
	v_mul_f64 v[41:42], v[83:84], v[2:3]
	v_add_f64 v[39:40], v[18:19], -v[39:40]
	v_fma_f64 v[41:42], v[81:82], v[0:1], v[41:42]
	v_mul_f64 v[0:1], v[83:84], v[0:1]
	s_delay_alu instid0(VALU_DEP_2) | instskip(NEXT) | instid1(VALU_DEP_2)
	v_add_f64 v[41:42], v[8:9], -v[41:42]
	v_fma_f64 v[43:44], v[81:82], v[2:3], -v[0:1]
	ds_load_b128 v[0:3], v186 offset:57344
	s_waitcnt lgkmcnt(0)
	v_mul_f64 v[45:46], v[91:92], v[2:3]
	v_add_f64 v[43:44], v[10:11], -v[43:44]
	s_delay_alu instid0(VALU_DEP_2) | instskip(SKIP_1) | instid1(VALU_DEP_2)
	v_fma_f64 v[45:46], v[89:90], v[0:1], v[45:46]
	v_mul_f64 v[0:1], v[91:92], v[0:1]
	v_add_f64 v[45:46], v[25:26], -v[45:46]
	s_delay_alu instid0(VALU_DEP_2) | instskip(SKIP_4) | instid1(VALU_DEP_2)
	v_fma_f64 v[47:48], v[89:90], v[2:3], -v[0:1]
	ds_load_b128 v[0:3], v186 offset:36864
	s_waitcnt lgkmcnt(0)
	v_mul_f64 v[65:66], v[95:96], v[2:3]
	v_add_f64 v[47:48], v[27:28], -v[47:48]
	v_fma_f64 v[65:66], v[93:94], v[0:1], v[65:66]
	v_mul_f64 v[0:1], v[95:96], v[0:1]
	s_delay_alu instid0(VALU_DEP_2) | instskip(NEXT) | instid1(VALU_DEP_2)
	v_add_f64 v[89:90], v[4:5], -v[65:66]
	v_fma_f64 v[67:68], v[93:94], v[2:3], -v[0:1]
	ds_load_b128 v[0:3], v186 offset:53248
	s_waitcnt lgkmcnt(0)
	v_mul_f64 v[73:74], v[99:100], v[2:3]
	v_add_f64 v[91:92], v[6:7], -v[67:68]
	s_delay_alu instid0(VALU_DEP_2) | instskip(SKIP_1) | instid1(VALU_DEP_2)
	v_fma_f64 v[73:74], v[97:98], v[0:1], v[73:74]
	v_mul_f64 v[0:1], v[99:100], v[0:1]
	v_add_f64 v[65:66], v[21:22], -v[73:74]
	s_delay_alu instid0(VALU_DEP_2) | instskip(SKIP_4) | instid1(VALU_DEP_2)
	v_fma_f64 v[75:76], v[97:98], v[2:3], -v[0:1]
	ds_load_b128 v[0:3], v186 offset:45056
	s_waitcnt lgkmcnt(0)
	v_mul_f64 v[77:78], v[103:104], v[2:3]
	v_add_f64 v[67:68], v[23:24], -v[75:76]
	v_fma_f64 v[77:78], v[101:102], v[0:1], v[77:78]
	v_mul_f64 v[0:1], v[103:104], v[0:1]
	s_delay_alu instid0(VALU_DEP_2) | instskip(NEXT) | instid1(VALU_DEP_2)
	v_add_f64 v[73:74], v[12:13], -v[77:78]
	v_fma_f64 v[79:80], v[101:102], v[2:3], -v[0:1]
	ds_load_b128 v[0:3], v186 offset:61440
	s_waitcnt lgkmcnt(0)
	v_mul_f64 v[81:82], v[111:112], v[0:1]
	v_add_f64 v[75:76], v[14:15], -v[79:80]
	s_delay_alu instid0(VALU_DEP_2) | instskip(SKIP_2) | instid1(VALU_DEP_3)
	v_fma_f64 v[81:82], v[109:110], v[2:3], -v[81:82]
	v_mul_f64 v[2:3], v[111:112], v[2:3]
	v_add_f64 v[111:112], v[91:92], -v[65:66]
	v_add_f64 v[77:78], v[31:32], -v[81:82]
	s_delay_alu instid0(VALU_DEP_3)
	v_fma_f64 v[83:84], v[109:110], v[0:1], v[2:3]
	ds_load_b128 v[0:3], v186
	v_fma_f64 v[81:82], v[8:9], 2.0, -v[41:42]
	v_fma_f64 v[8:9], v[25:26], 2.0, -v[45:46]
	;; [unrolled: 1-line block ×5, first 2 shown]
	v_add_f64 v[45:46], v[43:44], -v[45:46]
	v_add_f64 v[109:110], v[89:90], v[67:68]
	s_waitcnt lgkmcnt(0)
	s_barrier
	buffer_gl0_inv
	v_add_f64 v[35:36], v[2:3], -v[35:36]
	v_add_f64 v[33:34], v[0:1], -v[33:34]
	v_fma_f64 v[12:13], v[31:32], 2.0, -v[77:78]
	v_add_f64 v[79:80], v[29:30], -v[83:84]
	v_fma_f64 v[83:84], v[10:11], 2.0, -v[43:44]
	v_fma_f64 v[10:11], v[27:28], 2.0, -v[47:48]
	;; [unrolled: 1-line block ×5, first 2 shown]
	v_add_f64 v[93:94], v[81:82], -v[8:9]
	v_add_f64 v[97:98], v[25:26], -v[4:5]
	v_add_f64 v[47:48], v[41:42], v[47:48]
	v_add_f64 v[77:78], v[73:74], v[77:78]
	v_fma_f64 v[87:88], v[2:3], 2.0, -v[35:36]
	v_fma_f64 v[2:3], v[18:19], 2.0, -v[39:40]
	;; [unrolled: 1-line block ×4, first 2 shown]
	v_add_f64 v[39:40], v[33:34], v[39:40]
	v_add_f64 v[37:38], v[35:36], -v[37:38]
	v_fma_f64 v[14:15], v[29:30], 2.0, -v[79:80]
	v_add_f64 v[79:80], v[75:76], -v[79:80]
	v_add_f64 v[95:96], v[83:84], -v[10:11]
	;; [unrolled: 1-line block ×4, first 2 shown]
	v_fma_f64 v[25:26], v[25:26], 2.0, -v[97:98]
	v_add_f64 v[31:32], v[87:88], -v[2:3]
	v_add_f64 v[29:30], v[85:86], -v[0:1]
	v_fma_f64 v[33:34], v[33:34], 2.0, -v[39:40]
	v_fma_f64 v[35:36], v[35:36], 2.0, -v[37:38]
	v_add_f64 v[103:104], v[21:22], -v[14:15]
	v_fma_f64 v[27:28], v[27:28], 2.0, -v[99:100]
	v_add_f64 v[4:5], v[97:98], v[101:102]
	v_fma_f64 v[23:24], v[23:24], 2.0, -v[101:102]
	v_add_f64 v[18:19], v[31:32], -v[93:94]
	v_add_f64 v[16:17], v[29:30], v[95:96]
	v_add_f64 v[6:7], v[99:100], -v[103:104]
	v_fma_f64 v[21:22], v[21:22], 2.0, -v[103:104]
	v_fma_f64 v[8:9], v[97:98], 2.0, -v[4:5]
	v_add_f64 v[23:24], v[27:28], -v[23:24]
	v_fma_f64 v[107:108], v[31:32], 2.0, -v[18:19]
	v_fma_f64 v[31:32], v[87:88], 2.0, -v[31:32]
	v_fma_f64 v[0:1], v[4:5], s[8:9], v[16:17]
	v_fma_f64 v[105:106], v[29:30], 2.0, -v[16:17]
	v_fma_f64 v[29:30], v[85:86], 2.0, -v[29:30]
	v_fma_f64 v[2:3], v[6:7], s[8:9], v[18:19]
	v_add_f64 v[21:22], v[25:26], -v[21:22]
	v_fma_f64 v[0:1], v[6:7], s[8:9], v[0:1]
	s_delay_alu instid0(VALU_DEP_3) | instskip(SKIP_2) | instid1(VALU_DEP_4)
	v_fma_f64 v[2:3], v[4:5], s[2:3], v[2:3]
	v_fma_f64 v[4:5], v[99:100], 2.0, -v[6:7]
	v_fma_f64 v[6:7], v[8:9], s[2:3], v[105:106]
	v_fma_f64 v[16:17], v[16:17], 2.0, -v[0:1]
	s_delay_alu instid0(VALU_DEP_4) | instskip(NEXT) | instid1(VALU_DEP_4)
	v_fma_f64 v[18:19], v[18:19], 2.0, -v[2:3]
	v_fma_f64 v[10:11], v[4:5], s[2:3], v[107:108]
	s_delay_alu instid0(VALU_DEP_4) | instskip(NEXT) | instid1(VALU_DEP_2)
	v_fma_f64 v[4:5], v[4:5], s[8:9], v[6:7]
	v_fma_f64 v[6:7], v[8:9], s[2:3], v[10:11]
	;; [unrolled: 1-line block ×3, first 2 shown]
	s_delay_alu instid0(VALU_DEP_1) | instskip(SKIP_1) | instid1(VALU_DEP_2)
	v_fma_f64 v[65:66], v[45:46], s[8:9], v[8:9]
	v_fma_f64 v[8:9], v[45:46], s[8:9], v[37:38]
	v_fma_f64 v[115:116], v[39:40], 2.0, -v[65:66]
	s_delay_alu instid0(VALU_DEP_2) | instskip(SKIP_3) | instid1(VALU_DEP_4)
	v_fma_f64 v[67:68], v[47:48], s[2:3], v[8:9]
	v_fma_f64 v[8:9], v[77:78], s[8:9], v[109:110]
	v_fma_f64 v[39:40], v[43:44], 2.0, -v[45:46]
	v_fma_f64 v[43:44], v[75:76], 2.0, -v[79:80]
	;; [unrolled: 1-line block ×3, first 2 shown]
	s_delay_alu instid0(VALU_DEP_4) | instskip(SKIP_3) | instid1(VALU_DEP_4)
	v_fma_f64 v[12:13], v[79:80], s[8:9], v[8:9]
	v_fma_f64 v[8:9], v[79:80], s[8:9], v[111:112]
	v_fma_f64 v[37:38], v[41:42], 2.0, -v[47:48]
	v_fma_f64 v[41:42], v[91:92], 2.0, -v[111:112]
	v_fma_f64 v[113:114], v[109:110], 2.0, -v[12:13]
	s_delay_alu instid0(VALU_DEP_4) | instskip(SKIP_1) | instid1(VALU_DEP_2)
	v_fma_f64 v[14:15], v[77:78], s[2:3], v[8:9]
	v_fma_f64 v[8:9], v[12:13], s[18:19], v[65:66]
	v_fma_f64 v[10:11], v[14:15], s[18:19], v[67:68]
	s_delay_alu instid0(VALU_DEP_2) | instskip(NEXT) | instid1(VALU_DEP_2)
	v_fma_f64 v[8:9], v[14:15], s[16:17], v[8:9]
	v_fma_f64 v[10:11], v[12:13], s[12:13], v[10:11]
	ds_store_b128 v192, v[0:3] offset:3584
	v_fma_f64 v[0:1], v[65:66], 2.0, -v[8:9]
	v_fma_f64 v[12:13], v[111:112], 2.0, -v[14:15]
	v_fma_f64 v[14:15], v[113:114], s[12:13], v[115:116]
	ds_store_b128 v192, v[8:11] offset:3840
	v_fma_f64 v[2:3], v[67:68], 2.0, -v[10:11]
	v_fma_f64 v[8:9], v[81:82], 2.0, -v[93:94]
	;; [unrolled: 1-line block ×3, first 2 shown]
	v_fma_f64 v[119:120], v[12:13], s[12:13], v[117:118]
	v_fma_f64 v[12:13], v[12:13], s[18:19], v[14:15]
	s_delay_alu instid0(VALU_DEP_4) | instskip(NEXT) | instid1(VALU_DEP_4)
	v_add_f64 v[81:82], v[29:30], -v[8:9]
	v_add_f64 v[83:84], v[31:32], -v[10:11]
	s_delay_alu instid0(VALU_DEP_4) | instskip(NEXT) | instid1(VALU_DEP_3)
	v_fma_f64 v[14:15], v[113:114], s[14:15], v[119:120]
	v_add_f64 v[8:9], v[81:82], v[23:24]
	s_delay_alu instid0(VALU_DEP_3) | instskip(NEXT) | instid1(VALU_DEP_2)
	v_add_f64 v[10:11], v[83:84], -v[21:22]
	v_fma_f64 v[65:66], v[81:82], 2.0, -v[8:9]
	s_delay_alu instid0(VALU_DEP_2)
	v_fma_f64 v[67:68], v[83:84], 2.0, -v[10:11]
	ds_store_b128 v192, v[8:11] offset:3072
	v_fma_f64 v[8:9], v[89:90], 2.0, -v[109:110]
	v_fma_f64 v[10:11], v[73:74], 2.0, -v[77:78]
	ds_store_b128 v192, v[16:19] offset:1536
	ds_store_b128 v192, v[0:3] offset:1792
	v_fma_f64 v[0:1], v[105:106], 2.0, -v[4:5]
	v_fma_f64 v[2:3], v[107:108], 2.0, -v[6:7]
	ds_store_b128 v192, v[4:7] offset:2560
	ds_store_b128 v192, v[12:15] offset:2816
	v_fma_f64 v[4:5], v[115:116], 2.0, -v[12:13]
	v_fma_f64 v[6:7], v[117:118], 2.0, -v[14:15]
	;; [unrolled: 1-line block ×4, first 2 shown]
	v_fma_f64 v[45:46], v[10:11], s[2:3], v[8:9]
	s_delay_alu instid0(VALU_DEP_1) | instskip(SKIP_1) | instid1(VALU_DEP_1)
	v_fma_f64 v[45:46], v[43:44], s[8:9], v[45:46]
	v_fma_f64 v[43:44], v[43:44], s[2:3], v[41:42]
	v_fma_f64 v[43:44], v[10:11], s[2:3], v[43:44]
	v_fma_f64 v[10:11], v[39:40], s[2:3], v[35:36]
	s_delay_alu instid0(VALU_DEP_2) | instskip(NEXT) | instid1(VALU_DEP_2)
	v_fma_f64 v[41:42], v[41:42], 2.0, -v[43:44]
	v_fma_f64 v[47:48], v[37:38], s[2:3], v[10:11]
	v_fma_f64 v[10:11], v[37:38], s[2:3], v[33:34]
	s_delay_alu instid0(VALU_DEP_2) | instskip(NEXT) | instid1(VALU_DEP_2)
	v_fma_f64 v[35:36], v[35:36], 2.0, -v[47:48]
	v_fma_f64 v[37:38], v[39:40], s[8:9], v[10:11]
	v_fma_f64 v[39:40], v[8:9], 2.0, -v[45:46]
	v_fma_f64 v[8:9], v[43:44], s[16:17], v[47:48]
	s_delay_alu instid0(VALU_DEP_3) | instskip(SKIP_1) | instid1(VALU_DEP_3)
	v_fma_f64 v[73:74], v[45:46], s[16:17], v[37:38]
	v_fma_f64 v[33:34], v[33:34], 2.0, -v[37:38]
	v_fma_f64 v[10:11], v[45:46], s[14:15], v[8:9]
	v_fma_f64 v[45:46], v[41:42], s[14:15], v[35:36]
	s_delay_alu instid0(VALU_DEP_4)
	v_fma_f64 v[8:9], v[43:44], s[18:19], v[73:74]
	ds_store_b128 v192, v[8:11] offset:3328
	ds_store_b128 v192, v[65:68] offset:1024
	v_fma_f64 v[12:13], v[37:38], 2.0, -v[8:9]
	v_fma_f64 v[14:15], v[47:48], 2.0, -v[10:11]
	;; [unrolled: 1-line block ×4, first 2 shown]
	v_fma_f64 v[43:44], v[39:40], s[14:15], v[33:34]
	v_fma_f64 v[75:76], v[39:40], s[12:13], v[45:46]
	s_delay_alu instid0(VALU_DEP_4) | instskip(NEXT) | instid1(VALU_DEP_4)
	v_add_f64 v[8:9], v[16:17], -v[8:9]
	v_add_f64 v[10:11], v[18:19], -v[10:11]
	s_delay_alu instid0(VALU_DEP_4)
	v_fma_f64 v[73:74], v[41:42], s[16:17], v[43:44]
	ds_store_b128 v192, v[8:11] offset:2048
	ds_store_b128 v192, v[0:3] offset:512
	;; [unrolled: 1-line block ×4, first 2 shown]
	v_fma_f64 v[16:17], v[16:17], 2.0, -v[8:9]
	v_fma_f64 v[18:19], v[18:19], 2.0, -v[10:11]
	;; [unrolled: 1-line block ×4, first 2 shown]
	ds_store_b128 v192, v[73:76] offset:2304
	ds_store_b128 v192, v[16:19]
	ds_store_b128 v192, v[0:3] offset:256
	s_waitcnt lgkmcnt(0)
	s_barrier
	buffer_gl0_inv
	ds_load_b128 v[0:3], v186 offset:4096
	s_waitcnt lgkmcnt(0)
	v_mul_f64 v[4:5], v[71:72], v[2:3]
	s_delay_alu instid0(VALU_DEP_1) | instskip(SKIP_1) | instid1(VALU_DEP_1)
	v_fma_f64 v[4:5], v[69:70], v[0:1], v[4:5]
	v_mul_f64 v[0:1], v[71:72], v[0:1]
	v_fma_f64 v[6:7], v[69:70], v[2:3], -v[0:1]
	ds_load_b128 v[0:3], v186 offset:8192
	s_waitcnt lgkmcnt(0)
	v_mul_f64 v[8:9], v[131:132], v[2:3]
	s_delay_alu instid0(VALU_DEP_1) | instskip(SKIP_1) | instid1(VALU_DEP_1)
	v_fma_f64 v[8:9], v[129:130], v[0:1], v[8:9]
	v_mul_f64 v[0:1], v[131:132], v[0:1]
	v_fma_f64 v[10:11], v[129:130], v[2:3], -v[0:1]
	;; [unrolled: 7-line block ×9, first 2 shown]
	ds_load_b128 v[0:3], v186 offset:40960
	s_waitcnt lgkmcnt(0)
	v_mul_f64 v[41:42], v[167:168], v[2:3]
	s_delay_alu instid0(VALU_DEP_1) | instskip(SKIP_1) | instid1(VALU_DEP_2)
	v_fma_f64 v[41:42], v[165:166], v[0:1], v[41:42]
	v_mul_f64 v[0:1], v[167:168], v[0:1]
	v_add_f64 v[69:70], v[8:9], -v[41:42]
	s_delay_alu instid0(VALU_DEP_2) | instskip(SKIP_4) | instid1(VALU_DEP_2)
	v_fma_f64 v[43:44], v[165:166], v[2:3], -v[0:1]
	ds_load_b128 v[0:3], v186 offset:57344
	s_waitcnt lgkmcnt(0)
	v_mul_f64 v[45:46], v[183:184], v[2:3]
	v_add_f64 v[71:72], v[10:11], -v[43:44]
	v_fma_f64 v[45:46], v[181:182], v[0:1], v[45:46]
	v_mul_f64 v[0:1], v[183:184], v[0:1]
	s_delay_alu instid0(VALU_DEP_1) | instskip(SKIP_3) | instid1(VALU_DEP_1)
	v_fma_f64 v[47:48], v[181:182], v[2:3], -v[0:1]
	ds_load_b128 v[0:3], v186 offset:36864
	s_waitcnt lgkmcnt(0)
	v_mul_f64 v[65:66], v[155:156], v[2:3]
	v_fma_f64 v[73:74], v[153:154], v[0:1], v[65:66]
	v_mul_f64 v[0:1], v[155:156], v[0:1]
	s_delay_alu instid0(VALU_DEP_2) | instskip(NEXT) | instid1(VALU_DEP_2)
	v_add_f64 v[77:78], v[4:5], -v[73:74]
	v_fma_f64 v[75:76], v[153:154], v[2:3], -v[0:1]
	ds_load_b128 v[0:3], v186 offset:53248
	s_waitcnt lgkmcnt(0)
	v_mul_f64 v[65:66], v[171:172], v[2:3]
	v_add_f64 v[73:74], v[6:7], -v[75:76]
	s_delay_alu instid0(VALU_DEP_2) | instskip(SKIP_1) | instid1(VALU_DEP_2)
	v_fma_f64 v[79:80], v[169:170], v[0:1], v[65:66]
	v_mul_f64 v[0:1], v[171:172], v[0:1]
	v_add_f64 v[41:42], v[21:22], -v[79:80]
	s_delay_alu instid0(VALU_DEP_2)
	v_fma_f64 v[85:86], v[169:170], v[2:3], -v[0:1]
	ds_load_b128 v[0:3], v186 offset:45056
	s_waitcnt lgkmcnt(0)
	v_mul_f64 v[65:66], v[159:160], v[2:3]
	v_add_f64 v[43:44], v[23:24], -v[85:86]
	v_fma_f64 v[85:86], v[8:9], 2.0, -v[69:70]
	s_delay_alu instid0(VALU_DEP_3) | instskip(SKIP_1) | instid1(VALU_DEP_2)
	v_fma_f64 v[87:88], v[157:158], v[0:1], v[65:66]
	v_mul_f64 v[0:1], v[159:160], v[0:1]
	v_add_f64 v[79:80], v[12:13], -v[87:88]
	s_delay_alu instid0(VALU_DEP_2)
	v_fma_f64 v[89:90], v[157:158], v[2:3], -v[0:1]
	ds_load_b128 v[0:3], v186 offset:61440
	v_fma_f64 v[87:88], v[10:11], 2.0, -v[71:72]
	s_waitcnt lgkmcnt(0)
	v_mul_f64 v[65:66], v[179:180], v[0:1]
	v_add_f64 v[75:76], v[14:15], -v[89:90]
	v_fma_f64 v[89:90], v[4:5], 2.0, -v[77:78]
	v_fma_f64 v[4:5], v[21:22], 2.0, -v[41:42]
	s_delay_alu instid0(VALU_DEP_4) | instskip(SKIP_2) | instid1(VALU_DEP_4)
	v_fma_f64 v[91:92], v[177:178], v[2:3], -v[65:66]
	v_mul_f64 v[2:3], v[179:180], v[2:3]
	v_fma_f64 v[95:96], v[14:15], 2.0, -v[75:76]
	v_add_f64 v[105:106], v[89:90], -v[4:5]
	s_delay_alu instid0(VALU_DEP_3)
	v_fma_f64 v[93:94], v[177:178], v[0:1], v[2:3]
	ds_load_b128 v[0:3], v186
	s_waitcnt lgkmcnt(0)
	v_add_f64 v[65:66], v[0:1], -v[33:34]
	v_add_f64 v[67:68], v[2:3], -v[35:36]
	;; [unrolled: 1-line block ×7, first 2 shown]
	v_fma_f64 v[91:92], v[6:7], 2.0, -v[73:74]
	v_fma_f64 v[6:7], v[23:24], 2.0, -v[43:44]
	v_add_f64 v[47:48], v[29:30], -v[93:94]
	v_fma_f64 v[93:94], v[12:13], 2.0, -v[79:80]
	v_fma_f64 v[81:82], v[0:1], 2.0, -v[65:66]
	;; [unrolled: 1-line block ×8, first 2 shown]
	v_add_f64 v[31:32], v[69:70], v[39:40]
	v_add_f64 v[107:108], v[91:92], -v[6:7]
	v_add_f64 v[33:34], v[67:68], -v[33:34]
	;; [unrolled: 1-line block ×3, first 2 shown]
	v_add_f64 v[41:42], v[79:80], v[45:46]
	v_fma_f64 v[14:15], v[29:30], 2.0, -v[47:48]
	v_add_f64 v[29:30], v[65:66], v[35:36]
	v_add_f64 v[35:36], v[71:72], -v[37:38]
	v_add_f64 v[37:38], v[77:78], v[43:44]
	v_add_f64 v[43:44], v[75:76], -v[47:48]
	v_add_f64 v[97:98], v[81:82], -v[0:1]
	;; [unrolled: 1-line block ×7, first 2 shown]
	s_delay_alu instid0(VALU_DEP_4) | instskip(NEXT) | instid1(VALU_DEP_4)
	v_add_f64 v[18:19], v[99:100], -v[101:102]
	v_add_f64 v[16:17], v[97:98], v[103:104]
	s_delay_alu instid0(VALU_DEP_4)
	v_add_f64 v[4:5], v[105:106], v[21:22]
	v_fma_f64 v[21:22], v[95:96], 2.0, -v[21:22]
	v_add_f64 v[6:7], v[107:108], -v[23:24]
	v_fma_f64 v[23:24], v[93:94], 2.0, -v[23:24]
	v_fma_f64 v[27:28], v[99:100], 2.0, -v[18:19]
	;; [unrolled: 1-line block ×3, first 2 shown]
	v_fma_f64 v[0:1], v[4:5], s[8:9], v[16:17]
	v_fma_f64 v[8:9], v[105:106], 2.0, -v[4:5]
	v_fma_f64 v[2:3], v[6:7], s[8:9], v[18:19]
	s_delay_alu instid0(VALU_DEP_3) | instskip(NEXT) | instid1(VALU_DEP_2)
	v_fma_f64 v[0:1], v[6:7], s[8:9], v[0:1]
	v_fma_f64 v[2:3], v[4:5], s[2:3], v[2:3]
	v_fma_f64 v[4:5], v[107:108], 2.0, -v[6:7]
	v_fma_f64 v[6:7], v[8:9], s[2:3], v[25:26]
	s_delay_alu instid0(VALU_DEP_4) | instskip(NEXT) | instid1(VALU_DEP_4)
	v_fma_f64 v[16:17], v[16:17], 2.0, -v[0:1]
	v_fma_f64 v[18:19], v[18:19], 2.0, -v[2:3]
	s_delay_alu instid0(VALU_DEP_4) | instskip(NEXT) | instid1(VALU_DEP_4)
	v_fma_f64 v[10:11], v[4:5], s[2:3], v[27:28]
	v_fma_f64 v[4:5], v[4:5], s[8:9], v[6:7]
	s_delay_alu instid0(VALU_DEP_2) | instskip(SKIP_1) | instid1(VALU_DEP_1)
	v_fma_f64 v[6:7], v[8:9], s[2:3], v[10:11]
	v_fma_f64 v[8:9], v[31:32], s[8:9], v[29:30]
	;; [unrolled: 1-line block ×4, first 2 shown]
	v_fma_f64 v[35:36], v[71:72], 2.0, -v[35:36]
	s_delay_alu instid0(VALU_DEP_3) | instskip(NEXT) | instid1(VALU_DEP_3)
	v_fma_f64 v[111:112], v[29:30], 2.0, -v[45:46]
	v_fma_f64 v[47:48], v[31:32], s[2:3], v[8:9]
	v_fma_f64 v[8:9], v[41:42], s[8:9], v[37:38]
	v_fma_f64 v[29:30], v[65:66], 2.0, -v[29:30]
	v_fma_f64 v[31:32], v[69:70], 2.0, -v[31:32]
	s_delay_alu instid0(VALU_DEP_4) | instskip(NEXT) | instid1(VALU_DEP_4)
	v_fma_f64 v[113:114], v[33:34], 2.0, -v[47:48]
	v_fma_f64 v[12:13], v[43:44], s[8:9], v[8:9]
	v_fma_f64 v[8:9], v[43:44], s[8:9], v[39:40]
	v_fma_f64 v[33:34], v[67:68], 2.0, -v[33:34]
	s_delay_alu instid0(VALU_DEP_3) | instskip(NEXT) | instid1(VALU_DEP_3)
	v_fma_f64 v[109:110], v[37:38], 2.0, -v[12:13]
	v_fma_f64 v[14:15], v[41:42], s[2:3], v[8:9]
	v_fma_f64 v[8:9], v[12:13], s[18:19], v[45:46]
	s_delay_alu instid0(VALU_DEP_2) | instskip(NEXT) | instid1(VALU_DEP_2)
	v_fma_f64 v[10:11], v[14:15], s[18:19], v[47:48]
	v_fma_f64 v[8:9], v[14:15], s[16:17], v[8:9]
	s_delay_alu instid0(VALU_DEP_2)
	v_fma_f64 v[10:11], v[12:13], s[12:13], v[10:11]
	ds_store_b128 v186, v[0:3] offset:57344
	v_fma_f64 v[0:1], v[45:46], 2.0, -v[8:9]
	v_fma_f64 v[45:46], v[81:82], 2.0, -v[97:98]
	;; [unrolled: 1-line block ×3, first 2 shown]
	v_fma_f64 v[14:15], v[109:110], s[12:13], v[111:112]
	ds_store_b128 v186, v[8:11] offset:61440
	v_fma_f64 v[2:3], v[47:48], 2.0, -v[10:11]
	v_fma_f64 v[47:48], v[83:84], 2.0, -v[99:100]
	;; [unrolled: 1-line block ×6, first 2 shown]
	v_fma_f64 v[115:116], v[12:13], s[12:13], v[113:114]
	v_fma_f64 v[12:13], v[12:13], s[18:19], v[14:15]
	v_add_f64 v[89:90], v[45:46], -v[8:9]
	v_add_f64 v[91:92], v[47:48], -v[10:11]
	;; [unrolled: 1-line block ×4, first 2 shown]
	v_fma_f64 v[14:15], v[109:110], s[14:15], v[115:116]
	s_delay_alu instid0(VALU_DEP_3) | instskip(NEXT) | instid1(VALU_DEP_3)
	v_add_f64 v[10:11], v[91:92], -v[23:24]
	v_add_f64 v[8:9], v[89:90], v[21:22]
	s_delay_alu instid0(VALU_DEP_2) | instskip(NEXT) | instid1(VALU_DEP_2)
	v_fma_f64 v[83:84], v[91:92], 2.0, -v[10:11]
	v_fma_f64 v[81:82], v[89:90], 2.0, -v[8:9]
	ds_store_b128 v186, v[8:11] offset:49152
	v_fma_f64 v[8:9], v[77:78], 2.0, -v[37:38]
	v_fma_f64 v[10:11], v[79:80], 2.0, -v[41:42]
	;; [unrolled: 1-line block ×4, first 2 shown]
	ds_store_b128 v186, v[16:19] offset:24576
	ds_store_b128 v186, v[0:3] offset:28672
	v_fma_f64 v[0:1], v[25:26], 2.0, -v[4:5]
	v_fma_f64 v[2:3], v[27:28], 2.0, -v[6:7]
	ds_store_b128 v186, v[4:7] offset:40960
	ds_store_b128 v186, v[12:15] offset:45056
	v_fma_f64 v[4:5], v[111:112], 2.0, -v[12:13]
	v_fma_f64 v[6:7], v[113:114], 2.0, -v[14:15]
	;; [unrolled: 1-line block ×4, first 2 shown]
	v_fma_f64 v[41:42], v[10:11], s[2:3], v[8:9]
	s_delay_alu instid0(VALU_DEP_1) | instskip(SKIP_1) | instid1(VALU_DEP_1)
	v_fma_f64 v[41:42], v[39:40], s[8:9], v[41:42]
	v_fma_f64 v[39:40], v[39:40], s[2:3], v[37:38]
	;; [unrolled: 1-line block ×4, first 2 shown]
	s_delay_alu instid0(VALU_DEP_2) | instskip(NEXT) | instid1(VALU_DEP_2)
	v_fma_f64 v[37:38], v[37:38], 2.0, -v[39:40]
	v_fma_f64 v[43:44], v[31:32], s[2:3], v[10:11]
	v_fma_f64 v[10:11], v[31:32], s[2:3], v[29:30]
	s_delay_alu instid0(VALU_DEP_2) | instskip(NEXT) | instid1(VALU_DEP_2)
	v_fma_f64 v[33:34], v[33:34], 2.0, -v[43:44]
	v_fma_f64 v[31:32], v[35:36], s[8:9], v[10:11]
	v_fma_f64 v[35:36], v[8:9], 2.0, -v[41:42]
	v_fma_f64 v[8:9], v[39:40], s[16:17], v[43:44]
	s_delay_alu instid0(VALU_DEP_3) | instskip(SKIP_1) | instid1(VALU_DEP_3)
	v_fma_f64 v[65:66], v[41:42], s[16:17], v[31:32]
	v_fma_f64 v[29:30], v[29:30], 2.0, -v[31:32]
	v_fma_f64 v[10:11], v[41:42], s[14:15], v[8:9]
	v_fma_f64 v[41:42], v[37:38], s[14:15], v[33:34]
	s_delay_alu instid0(VALU_DEP_4)
	v_fma_f64 v[8:9], v[39:40], s[18:19], v[65:66]
	ds_store_b128 v186, v[8:11] offset:53248
	ds_store_b128 v186, v[81:84] offset:16384
	v_fma_f64 v[12:13], v[31:32], 2.0, -v[8:9]
	v_fma_f64 v[14:15], v[43:44], 2.0, -v[10:11]
	;; [unrolled: 1-line block ×4, first 2 shown]
	v_fma_f64 v[39:40], v[35:36], s[14:15], v[29:30]
	v_fma_f64 v[67:68], v[35:36], s[12:13], v[41:42]
	s_delay_alu instid0(VALU_DEP_4) | instskip(NEXT) | instid1(VALU_DEP_4)
	v_add_f64 v[8:9], v[16:17], -v[8:9]
	v_add_f64 v[10:11], v[18:19], -v[10:11]
	s_delay_alu instid0(VALU_DEP_4)
	v_fma_f64 v[65:66], v[37:38], s[16:17], v[39:40]
	ds_store_b128 v186, v[8:11] offset:32768
	ds_store_b128 v186, v[0:3] offset:8192
	;; [unrolled: 1-line block ×4, first 2 shown]
	v_fma_f64 v[16:17], v[16:17], 2.0, -v[8:9]
	v_fma_f64 v[18:19], v[18:19], 2.0, -v[10:11]
	;; [unrolled: 1-line block ×4, first 2 shown]
	ds_store_b128 v186, v[65:68] offset:36864
	ds_store_b128 v186, v[16:19]
	ds_store_b128 v186, v[0:3] offset:4096
	s_waitcnt lgkmcnt(0)
	s_barrier
	buffer_gl0_inv
	s_clause 0x4
	scratch_load_b128 v[6:9], off, off offset:176
	scratch_load_b128 v[10:13], off, off
	scratch_load_b128 v[14:17], off, off offset:16
	scratch_load_b128 v[21:24], off, off offset:32
	;; [unrolled: 1-line block ×3, first 2 shown]
	ds_load_b128 v[0:3], v186
	s_clause 0x4
	scratch_load_b128 v[35:38], off, off offset:96
	scratch_load_b128 v[39:42], off, off offset:112
	;; [unrolled: 1-line block ×5, first 2 shown]
	s_waitcnt vmcnt(9) lgkmcnt(0)
	v_mul_f64 v[4:5], v[8:9], v[2:3]
	s_delay_alu instid0(VALU_DEP_1) | instskip(SKIP_1) | instid1(VALU_DEP_1)
	v_fma_f64 v[4:5], v[6:7], v[0:1], v[4:5]
	v_mul_f64 v[0:1], v[8:9], v[0:1]
	v_fma_f64 v[6:7], v[6:7], v[2:3], -v[0:1]
	ds_load_b128 v[0:3], v186 offset:4096
	s_waitcnt vmcnt(8) lgkmcnt(0)
	v_mul_f64 v[8:9], v[12:13], v[2:3]
	s_delay_alu instid0(VALU_DEP_1) | instskip(SKIP_1) | instid1(VALU_DEP_1)
	v_fma_f64 v[8:9], v[10:11], v[0:1], v[8:9]
	v_mul_f64 v[0:1], v[12:13], v[0:1]
	v_fma_f64 v[10:11], v[10:11], v[2:3], -v[0:1]
	ds_load_b128 v[0:3], v186 offset:8192
	;; [unrolled: 7-line block ×3, first 2 shown]
	s_waitcnt vmcnt(6) lgkmcnt(0)
	v_mul_f64 v[16:17], v[23:24], v[2:3]
	s_delay_alu instid0(VALU_DEP_1)
	v_fma_f64 v[16:17], v[21:22], v[0:1], v[16:17]
	v_mul_f64 v[0:1], v[23:24], v[0:1]
	scratch_load_b128 v[23:26], off, off offset:48 ; 16-byte Folded Reload
	v_fma_f64 v[18:19], v[21:22], v[2:3], -v[0:1]
	ds_load_b128 v[0:3], v186 offset:16384
	s_waitcnt vmcnt(0) lgkmcnt(0)
	v_mul_f64 v[21:22], v[25:26], v[2:3]
	s_delay_alu instid0(VALU_DEP_1) | instskip(SKIP_1) | instid1(VALU_DEP_1)
	v_fma_f64 v[21:22], v[23:24], v[0:1], v[21:22]
	v_mul_f64 v[0:1], v[25:26], v[0:1]
	v_fma_f64 v[23:24], v[23:24], v[2:3], -v[0:1]
	ds_load_b128 v[0:3], v186 offset:20480
	s_waitcnt lgkmcnt(0)
	v_mul_f64 v[25:26], v[29:30], v[2:3]
	s_delay_alu instid0(VALU_DEP_1) | instskip(SKIP_1) | instid1(VALU_DEP_1)
	v_fma_f64 v[25:26], v[27:28], v[0:1], v[25:26]
	v_mul_f64 v[0:1], v[29:30], v[0:1]
	v_fma_f64 v[27:28], v[27:28], v[2:3], -v[0:1]
	ds_load_b128 v[0:3], v186 offset:24576
	s_waitcnt lgkmcnt(0)
	;; [unrolled: 7-line block ×6, first 2 shown]
	v_mul_f64 v[45:46], v[67:68], v[2:3]
	s_delay_alu instid0(VALU_DEP_1)
	v_fma_f64 v[45:46], v[65:66], v[0:1], v[45:46]
	v_mul_f64 v[0:1], v[67:68], v[0:1]
	scratch_load_b128 v[67:70], off, off offset:160 ; 16-byte Folded Reload
	v_fma_f64 v[47:48], v[65:66], v[2:3], -v[0:1]
	ds_load_b128 v[0:3], v186 offset:45056
	s_waitcnt vmcnt(0) lgkmcnt(0)
	v_mul_f64 v[65:66], v[69:70], v[2:3]
	s_delay_alu instid0(VALU_DEP_1) | instskip(SKIP_1) | instid1(VALU_DEP_1)
	v_fma_f64 v[65:66], v[67:68], v[0:1], v[65:66]
	v_mul_f64 v[0:1], v[69:70], v[0:1]
	v_fma_f64 v[67:68], v[67:68], v[2:3], -v[0:1]
	ds_load_b128 v[0:3], v186 offset:49152
	s_waitcnt lgkmcnt(0)
	v_mul_f64 v[69:70], v[51:52], v[2:3]
	s_delay_alu instid0(VALU_DEP_1) | instskip(SKIP_1) | instid1(VALU_DEP_1)
	v_fma_f64 v[69:70], v[49:50], v[0:1], v[69:70]
	v_mul_f64 v[0:1], v[51:52], v[0:1]
	v_fma_f64 v[49:50], v[49:50], v[2:3], -v[0:1]
	ds_load_b128 v[0:3], v186 offset:53248
	s_waitcnt lgkmcnt(0)
	;; [unrolled: 7-line block ×4, first 2 shown]
	v_mul_f64 v[59:60], v[63:64], v[2:3]
	s_delay_alu instid0(VALU_DEP_1) | instskip(SKIP_1) | instid1(VALU_DEP_1)
	v_fma_f64 v[59:60], v[61:62], v[0:1], v[59:60]
	v_mul_f64 v[0:1], v[63:64], v[0:1]
	v_fma_f64 v[61:62], v[61:62], v[2:3], -v[0:1]
	v_mad_u64_u32 v[0:1], null, s6, v185, 0
	s_delay_alu instid0(VALU_DEP_1) | instskip(NEXT) | instid1(VALU_DEP_1)
	v_mad_u64_u32 v[2:3], null, s7, v185, v[1:2]
	v_mov_b32_e32 v1, v2
	v_mad_u64_u32 v[2:3], null, s4, v255, 0
	s_delay_alu instid0(VALU_DEP_2) | instskip(NEXT) | instid1(VALU_DEP_2)
	v_lshlrev_b64 v[0:1], 4, v[0:1]
	v_mad_u64_u32 v[63:64], null, s5, v255, v[3:4]
	s_delay_alu instid0(VALU_DEP_2) | instskip(NEXT) | instid1(VALU_DEP_3)
	v_add_co_u32 v20, vcc_lo, s0, v0
	v_add_co_ci_u32_e32 v64, vcc_lo, s1, v1, vcc_lo
	s_lshl_b64 s[0:1], s[4:5], 12
	s_delay_alu instid0(VALU_DEP_3) | instskip(NEXT) | instid1(VALU_DEP_1)
	v_mov_b32_e32 v3, v63
	v_lshlrev_b64 v[0:1], 4, v[2:3]
	v_ldexp_f64 v[2:3], v[6:7], -12
	v_ldexp_f64 v[6:7], v[43:44], -12
	s_delay_alu instid0(VALU_DEP_3) | instskip(NEXT) | instid1(VALU_DEP_4)
	v_add_co_u32 v63, vcc_lo, v20, v0
	v_add_co_ci_u32_e32 v64, vcc_lo, v64, v1, vcc_lo
	v_ldexp_f64 v[0:1], v[4:5], -12
	s_delay_alu instid0(VALU_DEP_3) | instskip(NEXT) | instid1(VALU_DEP_3)
	v_add_co_u32 v4, vcc_lo, v63, s0
	v_add_co_ci_u32_e32 v5, vcc_lo, s1, v64, vcc_lo
	global_store_b128 v[63:64], v[0:3], off
	v_ldexp_f64 v[0:1], v[8:9], -12
	v_ldexp_f64 v[2:3], v[10:11], -12
	;; [unrolled: 1-line block ×3, first 2 shown]
	global_store_b128 v[4:5], v[0:3], off
	v_ldexp_f64 v[0:1], v[12:13], -12
	v_ldexp_f64 v[2:3], v[14:15], -12
	v_add_co_u32 v4, vcc_lo, v4, s0
	v_add_co_ci_u32_e32 v5, vcc_lo, s1, v5, vcc_lo
	v_ldexp_f64 v[12:13], v[65:66], -12
	v_ldexp_f64 v[14:15], v[67:68], -12
	global_store_b128 v[4:5], v[0:3], off
	v_ldexp_f64 v[0:1], v[16:17], -12
	v_ldexp_f64 v[2:3], v[18:19], -12
	v_add_co_u32 v4, vcc_lo, v4, s0
	v_add_co_ci_u32_e32 v5, vcc_lo, s1, v5, vcc_lo
	v_ldexp_f64 v[16:17], v[69:70], -12
	v_ldexp_f64 v[18:19], v[49:50], -12
	;; [unrolled: 7-line block ×4, first 2 shown]
	global_store_b128 v[4:5], v[0:3], off
	v_ldexp_f64 v[0:1], v[29:30], -12
	v_ldexp_f64 v[2:3], v[31:32], -12
	v_add_co_u32 v4, vcc_lo, v4, s0
	v_add_co_ci_u32_e32 v5, vcc_lo, s1, v5, vcc_lo
	v_ldexp_f64 v[28:29], v[59:60], -12
	s_delay_alu instid0(VALU_DEP_3) | instskip(NEXT) | instid1(VALU_DEP_3)
	v_add_co_u32 v8, vcc_lo, v4, s0
	v_add_co_ci_u32_e32 v9, vcc_lo, s1, v5, vcc_lo
	v_ldexp_f64 v[30:31], v[61:62], -12
	s_delay_alu instid0(VALU_DEP_3)
	v_add_co_u32 v32, vcc_lo, v8, s0
	global_store_b128 v[4:5], v[0:3], off
	v_ldexp_f64 v[0:1], v[33:34], -12
	v_ldexp_f64 v[2:3], v[35:36], -12
	;; [unrolled: 1-line block ×3, first 2 shown]
	v_add_co_ci_u32_e32 v33, vcc_lo, s1, v9, vcc_lo
	v_add_co_u32 v34, vcc_lo, v32, s0
	s_delay_alu instid0(VALU_DEP_2)
	v_add_co_ci_u32_e32 v35, vcc_lo, s1, v33, vcc_lo
	global_store_b128 v[8:9], v[0:3], off
	v_ldexp_f64 v[0:1], v[37:38], -12
	v_ldexp_f64 v[2:3], v[39:40], -12
	;; [unrolled: 1-line block ×3, first 2 shown]
	global_store_b128 v[32:33], v[0:3], off
	v_add_co_u32 v0, vcc_lo, v34, s0
	v_add_co_ci_u32_e32 v1, vcc_lo, s1, v35, vcc_lo
	global_store_b128 v[34:35], v[4:7], off
	v_add_co_u32 v2, vcc_lo, v0, s0
	v_add_co_ci_u32_e32 v3, vcc_lo, s1, v1, vcc_lo
	s_delay_alu instid0(VALU_DEP_2) | instskip(NEXT) | instid1(VALU_DEP_2)
	v_add_co_u32 v32, vcc_lo, v2, s0
	v_add_co_ci_u32_e32 v33, vcc_lo, s1, v3, vcc_lo
	s_delay_alu instid0(VALU_DEP_2) | instskip(NEXT) | instid1(VALU_DEP_2)
	;; [unrolled: 3-line block ×4, first 2 shown]
	v_add_co_u32 v34, vcc_lo, v6, s0
	v_add_co_ci_u32_e32 v35, vcc_lo, s1, v7, vcc_lo
	global_store_b128 v[0:1], v[8:11], off
	global_store_b128 v[2:3], v[12:15], off
	;; [unrolled: 1-line block ×6, first 2 shown]
.LBB0_2:
	s_nop 0
	s_sendmsg sendmsg(MSG_DEALLOC_VGPRS)
	s_endpgm
	.section	.rodata,"a",@progbits
	.p2align	6, 0x0
	.amdhsa_kernel bluestein_single_fwd_len4096_dim1_dp_op_CI_CI
		.amdhsa_group_segment_fixed_size 65536
		.amdhsa_private_segment_fixed_size 196
		.amdhsa_kernarg_size 104
		.amdhsa_user_sgpr_count 15
		.amdhsa_user_sgpr_dispatch_ptr 0
		.amdhsa_user_sgpr_queue_ptr 0
		.amdhsa_user_sgpr_kernarg_segment_ptr 1
		.amdhsa_user_sgpr_dispatch_id 0
		.amdhsa_user_sgpr_private_segment_size 0
		.amdhsa_wavefront_size32 1
		.amdhsa_uses_dynamic_stack 0
		.amdhsa_enable_private_segment 1
		.amdhsa_system_sgpr_workgroup_id_x 1
		.amdhsa_system_sgpr_workgroup_id_y 0
		.amdhsa_system_sgpr_workgroup_id_z 0
		.amdhsa_system_sgpr_workgroup_info 0
		.amdhsa_system_vgpr_workitem_id 0
		.amdhsa_next_free_vgpr 256
		.amdhsa_next_free_sgpr 22
		.amdhsa_reserve_vcc 1
		.amdhsa_float_round_mode_32 0
		.amdhsa_float_round_mode_16_64 0
		.amdhsa_float_denorm_mode_32 3
		.amdhsa_float_denorm_mode_16_64 3
		.amdhsa_dx10_clamp 1
		.amdhsa_ieee_mode 1
		.amdhsa_fp16_overflow 0
		.amdhsa_workgroup_processor_mode 1
		.amdhsa_memory_ordered 1
		.amdhsa_forward_progress 0
		.amdhsa_shared_vgpr_count 0
		.amdhsa_exception_fp_ieee_invalid_op 0
		.amdhsa_exception_fp_denorm_src 0
		.amdhsa_exception_fp_ieee_div_zero 0
		.amdhsa_exception_fp_ieee_overflow 0
		.amdhsa_exception_fp_ieee_underflow 0
		.amdhsa_exception_fp_ieee_inexact 0
		.amdhsa_exception_int_div_zero 0
	.end_amdhsa_kernel
	.text
.Lfunc_end0:
	.size	bluestein_single_fwd_len4096_dim1_dp_op_CI_CI, .Lfunc_end0-bluestein_single_fwd_len4096_dim1_dp_op_CI_CI
                                        ; -- End function
	.section	.AMDGPU.csdata,"",@progbits
; Kernel info:
; codeLenInByte = 16352
; NumSgprs: 24
; NumVgprs: 256
; ScratchSize: 196
; MemoryBound: 0
; FloatMode: 240
; IeeeMode: 1
; LDSByteSize: 65536 bytes/workgroup (compile time only)
; SGPRBlocks: 2
; VGPRBlocks: 31
; NumSGPRsForWavesPerEU: 24
; NumVGPRsForWavesPerEU: 256
; Occupancy: 4
; WaveLimiterHint : 1
; COMPUTE_PGM_RSRC2:SCRATCH_EN: 1
; COMPUTE_PGM_RSRC2:USER_SGPR: 15
; COMPUTE_PGM_RSRC2:TRAP_HANDLER: 0
; COMPUTE_PGM_RSRC2:TGID_X_EN: 1
; COMPUTE_PGM_RSRC2:TGID_Y_EN: 0
; COMPUTE_PGM_RSRC2:TGID_Z_EN: 0
; COMPUTE_PGM_RSRC2:TIDIG_COMP_CNT: 0
	.text
	.p2alignl 7, 3214868480
	.fill 96, 4, 3214868480
	.type	__hip_cuid_9913e8fb8ed3e57f,@object ; @__hip_cuid_9913e8fb8ed3e57f
	.section	.bss,"aw",@nobits
	.globl	__hip_cuid_9913e8fb8ed3e57f
__hip_cuid_9913e8fb8ed3e57f:
	.byte	0                               ; 0x0
	.size	__hip_cuid_9913e8fb8ed3e57f, 1

	.ident	"AMD clang version 19.0.0git (https://github.com/RadeonOpenCompute/llvm-project roc-6.4.0 25133 c7fe45cf4b819c5991fe208aaa96edf142730f1d)"
	.section	".note.GNU-stack","",@progbits
	.addrsig
	.addrsig_sym __hip_cuid_9913e8fb8ed3e57f
	.amdgpu_metadata
---
amdhsa.kernels:
  - .args:
      - .actual_access:  read_only
        .address_space:  global
        .offset:         0
        .size:           8
        .value_kind:     global_buffer
      - .actual_access:  read_only
        .address_space:  global
        .offset:         8
        .size:           8
        .value_kind:     global_buffer
      - .actual_access:  read_only
        .address_space:  global
        .offset:         16
        .size:           8
        .value_kind:     global_buffer
      - .actual_access:  read_only
        .address_space:  global
        .offset:         24
        .size:           8
        .value_kind:     global_buffer
      - .actual_access:  read_only
        .address_space:  global
        .offset:         32
        .size:           8
        .value_kind:     global_buffer
      - .offset:         40
        .size:           8
        .value_kind:     by_value
      - .address_space:  global
        .offset:         48
        .size:           8
        .value_kind:     global_buffer
      - .address_space:  global
        .offset:         56
        .size:           8
        .value_kind:     global_buffer
      - .address_space:  global
        .offset:         64
        .size:           8
        .value_kind:     global_buffer
      - .address_space:  global
        .offset:         72
        .size:           8
        .value_kind:     global_buffer
      - .offset:         80
        .size:           4
        .value_kind:     by_value
      - .address_space:  global
        .offset:         88
        .size:           8
        .value_kind:     global_buffer
      - .address_space:  global
        .offset:         96
        .size:           8
        .value_kind:     global_buffer
    .group_segment_fixed_size: 65536
    .kernarg_segment_align: 8
    .kernarg_segment_size: 104
    .language:       OpenCL C
    .language_version:
      - 2
      - 0
    .max_flat_workgroup_size: 256
    .name:           bluestein_single_fwd_len4096_dim1_dp_op_CI_CI
    .private_segment_fixed_size: 196
    .sgpr_count:     24
    .sgpr_spill_count: 0
    .symbol:         bluestein_single_fwd_len4096_dim1_dp_op_CI_CI.kd
    .uniform_work_group_size: 1
    .uses_dynamic_stack: false
    .vgpr_count:     256
    .vgpr_spill_count: 48
    .wavefront_size: 32
    .workgroup_processor_mode: 1
amdhsa.target:   amdgcn-amd-amdhsa--gfx1100
amdhsa.version:
  - 1
  - 2
...

	.end_amdgpu_metadata
